;; amdgpu-corpus repo=ROCm/rocFFT kind=compiled arch=gfx906 opt=O3
	.text
	.amdgcn_target "amdgcn-amd-amdhsa--gfx906"
	.amdhsa_code_object_version 6
	.protected	bluestein_single_fwd_len3456_dim1_sp_op_CI_CI ; -- Begin function bluestein_single_fwd_len3456_dim1_sp_op_CI_CI
	.globl	bluestein_single_fwd_len3456_dim1_sp_op_CI_CI
	.p2align	8
	.type	bluestein_single_fwd_len3456_dim1_sp_op_CI_CI,@function
bluestein_single_fwd_len3456_dim1_sp_op_CI_CI: ; @bluestein_single_fwd_len3456_dim1_sp_op_CI_CI
; %bb.0:
	s_load_dwordx4 s[16:19], s[4:5], 0x28
	s_mov_b64 s[26:27], s[2:3]
	v_mul_u32_u24_e32 v1, 0x1c8, v0
	s_mov_b64 s[24:25], s[0:1]
	v_add_u32_sdwa v2, s6, v1 dst_sel:DWORD dst_unused:UNUSED_PAD src0_sel:DWORD src1_sel:WORD_1
	v_mov_b32_e32 v3, 0
	s_add_u32 s24, s24, s7
	s_waitcnt lgkmcnt(0)
	v_cmp_gt_u64_e32 vcc, s[16:17], v[2:3]
	s_addc_u32 s25, s25, 0
	s_and_saveexec_b64 s[0:1], vcc
	s_cbranch_execz .LBB0_2
; %bb.1:
	s_load_dwordx4 s[0:3], s[4:5], 0x18
	s_load_dwordx4 s[8:11], s[4:5], 0x0
	v_mov_b32_e32 v4, v2
	s_movk_i32 s20, 0x90
	v_mul_lo_u16_sdwa v1, v1, s20 dst_sel:DWORD dst_unused:UNUSED_PAD src0_sel:WORD_1 src1_sel:DWORD
	s_waitcnt lgkmcnt(0)
	s_load_dwordx4 s[12:15], s[0:1], 0x0
	buffer_store_dword v4, off, s[24:27], 0 offset:68 ; 4-byte Folded Spill
	s_nop 0
	buffer_store_dword v5, off, s[24:27], 0 offset:72 ; 4-byte Folded Spill
	v_sub_u16_e32 v203, v0, v1
	v_lshlrev_b32_e32 v204, 3, v203
	s_add_u32 s6, s8, 0x6c00
	s_waitcnt lgkmcnt(0)
	v_mad_u64_u32 v[0:1], s[0:1], s14, v2, 0
	v_mad_u64_u32 v[2:3], s[0:1], s12, v203, 0
	s_addc_u32 s7, s9, 0
	s_movk_i32 s16, 0x2000
	v_or_b32_e32 v18, 0x900, v203
	global_load_dwordx2 v[223:224], v204, s[8:9]
	s_movk_i32 s17, 0x3000
	v_mov_b32_e32 v21, v18
	v_lshlrev_b32_e32 v215, 3, v21
	global_load_dwordx2 v[243:244], v215, s[8:9]
	s_movk_i32 s14, 0x5000
	buffer_store_dword v21, off, s[24:27], 0 ; 4-byte Folded Spill
	v_add_u32_e32 v208, 0x800, v204
	v_add_u32_e32 v217, 0x3400, v204
	;; [unrolled: 1-line block ×7, first 2 shown]
	v_mov_b32_e32 v80, s11
	s_load_dwordx2 s[4:5], s[4:5], 0x38
	v_mad_u64_u32 v[4:5], s[0:1], s15, v4, v[1:2]
	s_movk_i32 s15, 0x1000
	v_mad_u64_u32 v[5:6], s[0:1], s13, v203, v[3:4]
	v_mov_b32_e32 v1, v4
	v_lshlrev_b64 v[0:1], 3, v[0:1]
	v_mov_b32_e32 v3, v5
	v_mov_b32_e32 v4, s19
	v_add_co_u32_e32 v19, vcc, s18, v0
	v_addc_co_u32_e32 v20, vcc, v4, v1, vcc
	v_lshlrev_b64 v[0:1], 3, v[2:3]
	v_mov_b32_e32 v4, s9
	v_add_co_u32_e32 v0, vcc, v19, v0
	v_addc_co_u32_e32 v1, vcc, v20, v1, vcc
	v_add_co_u32_e32 v29, vcc, s8, v204
	s_mul_i32 s0, s13, 0x1200
	s_mul_hi_u32 s18, s12, 0x1200
	v_addc_co_u32_e32 v30, vcc, 0, v4, vcc
	s_add_i32 s18, s18, s0
	s_mul_i32 s19, s12, 0x1200
	global_load_dwordx2 v[2:3], v[0:1], off
	v_mov_b32_e32 v4, s18
	v_add_co_u32_e32 v0, vcc, s19, v0
	v_addc_co_u32_e32 v1, vcc, v1, v4, vcc
	v_add_co_u32_e32 v6, vcc, s15, v29
	v_addc_co_u32_e32 v7, vcc, 0, v30, vcc
	global_load_dwordx2 v[4:5], v[0:1], off
	v_mov_b32_e32 v8, s18
	v_add_co_u32_e32 v0, vcc, s19, v0
	v_addc_co_u32_e32 v1, vcc, v1, v8, vcc
	v_add_co_u32_e32 v10, vcc, s16, v29
	v_addc_co_u32_e32 v11, vcc, 0, v30, vcc
	global_load_dwordx2 v[8:9], v[0:1], off
	v_mov_b32_e32 v14, s18
	v_add_co_u32_e32 v0, vcc, s19, v0
	v_addc_co_u32_e32 v1, vcc, v1, v14, vcc
	global_load_dwordx2 v[14:15], v[0:1], off
	v_mad_u64_u32 v[12:13], s[0:1], s12, v18, 0
	global_load_dwordx2 v[227:228], v[6:7], off offset:512
	global_load_dwordx2 v[239:240], v[10:11], off offset:1024
	s_waitcnt vmcnt(5)
	v_mul_f32_e32 v27, v3, v224
	v_fmac_f32_e32 v27, v2, v223
	v_mul_f32_e32 v2, v2, v224
	v_fma_f32 v28, v3, v223, -v2
	s_waitcnt vmcnt(2)
	v_mad_u64_u32 v[16:17], s[0:1], s13, v18, v[13:14]
	v_add_co_u32_e32 v17, vcc, s17, v29
	v_mov_b32_e32 v13, v16
	v_mov_b32_e32 v16, 0x2400
	v_lshlrev_b64 v[12:13], 3, v[12:13]
	v_mad_u64_u32 v[0:1], s[0:1], s12, v16, v[0:1]
	v_addc_co_u32_e32 v18, vcc, 0, v30, vcc
	global_load_dwordx2 v[254:255], v[17:18], off offset:1536
	v_add_co_u32_e32 v12, vcc, v19, v12
	v_addc_co_u32_e32 v13, vcc, v20, v13, vcc
	s_mul_i32 s0, s13, 0x2400
	s_mul_hi_u32 s1, s12, 0xffffaa80
	global_load_dwordx2 v[12:13], v[12:13], off
	v_add_u32_e32 v1, s0, v1
	v_add_co_u32_e32 v21, vcc, s14, v29
	s_mul_i32 s0, s13, 0xffffaa80
	s_sub_i32 s13, s1, s12
	v_addc_co_u32_e32 v22, vcc, 0, v30, vcc
	global_load_dwordx2 v[230:231], v[21:22], off offset:2560
	s_add_i32 s13, s13, s0
	s_mulk_i32 s12, 0xaa80
	global_load_dwordx2 v[19:20], v[0:1], off
	v_mov_b32_e32 v16, s13
	v_add_co_u32_e32 v0, vcc, s12, v0
	v_addc_co_u32_e32 v1, vcc, v1, v16, vcc
	global_load_dwordx2 v[23:24], v[0:1], off
	global_load_dwordx2 v[232:233], v204, s[8:9] offset:1152
	v_mov_b32_e32 v16, s18
	v_add_co_u32_e32 v0, vcc, s19, v0
	v_addc_co_u32_e32 v1, vcc, v1, v16, vcc
	global_load_dwordx2 v[25:26], v[0:1], off
	global_load_dwordx2 v[59:60], v[6:7], off offset:1664
	s_load_dwordx4 s[0:3], s[2:3], 0x0
	global_load_dwordx2 v[49:50], v204, s[8:9] offset:2304
	global_load_dwordx2 v[45:46], v204, s[8:9] offset:3456
	s_waitcnt vmcnt(11)
	v_mul_f32_e32 v2, v5, v228
	v_mul_f32_e32 v3, v4, v228
	v_fmac_f32_e32 v2, v4, v227
	v_fma_f32 v3, v5, v227, -v3
	global_load_dwordx2 v[241:242], v[6:7], off offset:2816
	global_load_dwordx2 v[43:44], v[6:7], off offset:3968
	ds_write_b64 v204, v[2:3] offset:4608
	s_waitcnt vmcnt(12)
	v_mul_f32_e32 v2, v9, v240
	v_mul_f32_e32 v3, v8, v240
	v_fmac_f32_e32 v2, v8, v239
	v_fma_f32 v3, v9, v239, -v3
	global_load_dwordx2 v[213:214], v[10:11], off offset:2176
	global_load_dwordx2 v[61:62], v[10:11], off offset:3328
	ds_write_b64 v204, v[2:3] offset:9216
	global_load_dwordx2 v[221:222], v[17:18], off offset:2688
	global_load_dwordx2 v[57:58], v[17:18], off offset:3840
	global_load_dwordx2 v[47:48], v[17:18], off offset:384
	v_add_co_u32_e32 v0, vcc, s19, v0
	s_movk_i32 s8, 0x4000
	s_movk_i32 s9, 0x6000
	s_waitcnt vmcnt(16)
	v_mul_f32_e32 v2, v15, v255
	v_mul_f32_e32 v3, v14, v255
	v_fmac_f32_e32 v2, v14, v254
	v_fma_f32 v3, v15, v254, -v3
	ds_write_b64 v204, v[2:3] offset:13824
	global_load_dwordx2 v[55:56], v[21:22], off offset:256
	global_load_dwordx2 v[41:42], v[21:22], off offset:1408
	s_waitcnt vmcnt(17)
	v_mul_f32_e32 v2, v13, v244
	v_mul_f32_e32 v3, v12, v244
	v_fmac_f32_e32 v2, v12, v243
	v_fma_f32 v3, v13, v243, -v3
	ds_write_b64 v204, v[2:3] offset:18432
	s_waitcnt vmcnt(15)
	v_mul_f32_e32 v2, v20, v231
	v_mul_f32_e32 v3, v19, v231
	v_fmac_f32_e32 v2, v19, v230
	v_fma_f32 v3, v20, v230, -v3
	ds_write_b64 v204, v[2:3] offset:23040
	s_waitcnt vmcnt(13)
	v_mul_f32_e32 v2, v24, v233
	v_mul_f32_e32 v3, v23, v233
	v_fmac_f32_e32 v2, v23, v232
	v_fma_f32 v3, v24, v232, -v3
	ds_write2_b64 v204, v[27:28], v[2:3] offset1:144
	v_mov_b32_e32 v3, s18
	v_addc_co_u32_e32 v1, vcc, v1, v3, vcc
	global_load_dwordx2 v[4:5], v[0:1], off
	v_add_co_u32_e32 v0, vcc, s19, v0
	v_addc_co_u32_e32 v1, vcc, v1, v3, vcc
	global_load_dwordx2 v[6:7], v[0:1], off
	v_add_co_u32_e32 v0, vcc, s19, v0
	v_addc_co_u32_e32 v1, vcc, v1, v3, vcc
	v_add_co_u32_e32 v10, vcc, s8, v29
	v_addc_co_u32_e32 v11, vcc, 0, v30, vcc
	global_load_dwordx2 v[8:9], v[0:1], off
	v_add_co_u32_e32 v0, vcc, s19, v0
	v_addc_co_u32_e32 v1, vcc, v1, v3, vcc
	global_load_dwordx2 v[209:210], v[10:11], off offset:3200
	global_load_dwordx2 v[12:13], v[0:1], off
	global_load_dwordx2 v[211:212], v[21:22], off offset:3712
	v_mov_b32_e32 v3, s13
	v_add_co_u32_e32 v0, vcc, s12, v0
	v_addc_co_u32_e32 v1, vcc, v1, v3, vcc
	global_load_dwordx2 v[14:15], v[0:1], off
	v_mov_b32_e32 v3, s18
	v_add_co_u32_e32 v0, vcc, s19, v0
	v_addc_co_u32_e32 v1, vcc, v1, v3, vcc
	global_load_dwordx2 v[16:17], v[0:1], off
	v_add_co_u32_e32 v0, vcc, s19, v0
	v_addc_co_u32_e32 v1, vcc, v1, v3, vcc
	global_load_dwordx2 v[18:19], v[0:1], off
	;; [unrolled: 3-line block ×4, first 2 shown]
	v_add_co_u32_e32 v0, vcc, s19, v0
	v_addc_co_u32_e32 v1, vcc, v1, v3, vcc
	v_add_co_u32_e32 v29, vcc, s9, v29
	v_addc_co_u32_e32 v30, vcc, 0, v30, vcc
	global_load_dwordx2 v[27:28], v[0:1], off
	v_mov_b32_e32 v3, s13
	v_add_co_u32_e32 v0, vcc, s12, v0
	v_addc_co_u32_e32 v1, vcc, v1, v3, vcc
	global_load_dwordx2 v[31:32], v[0:1], off
	v_mov_b32_e32 v3, s18
	v_add_co_u32_e32 v0, vcc, s19, v0
	v_addc_co_u32_e32 v1, vcc, v1, v3, vcc
	global_load_dwordx2 v[33:34], v[0:1], off
	v_add_co_u32_e32 v0, vcc, s19, v0
	v_addc_co_u32_e32 v1, vcc, v1, v3, vcc
	global_load_dwordx2 v[35:36], v[0:1], off
	v_add_co_u32_e32 v0, vcc, s19, v0
	v_addc_co_u32_e32 v1, vcc, v1, v3, vcc
	global_load_dwordx2 v[225:226], v[29:30], off offset:768
	global_load_dwordx2 v[37:38], v[0:1], off
	global_load_dwordx2 v[53:54], v[10:11], off offset:896
	v_add_co_u32_e32 v0, vcc, s19, v0
	v_addc_co_u32_e32 v1, vcc, v1, v3, vcc
	global_load_dwordx2 v[10:11], v[0:1], off
	v_add_co_u32_e32 v0, vcc, s19, v0
	v_addc_co_u32_e32 v1, vcc, v1, v3, vcc
	s_waitcnt vmcnt(30)
	v_mul_f32_e32 v2, v26, v60
	global_load_dwordx2 v[39:40], v[0:1], off
	global_load_dwordx2 v[51:52], v[29:30], off offset:1920
	s_nop 0
	buffer_store_dword v59, off, s[24:27], 0 offset:84 ; 4-byte Folded Spill
	s_nop 0
	buffer_store_dword v60, off, s[24:27], 0 offset:88 ; 4-byte Folded Spill
	s_waitcnt vmcnt(33)
	buffer_store_dword v49, off, s[24:27], 0 offset:52 ; 4-byte Folded Spill
	s_nop 0
	buffer_store_dword v50, off, s[24:27], 0 offset:56 ; 4-byte Folded Spill
	s_waitcnt vmcnt(24)
	v_mul_f32_e32 v1, v4, v214
	v_fma_f32 v1, v5, v213, -v1
	v_add_co_u32_e32 v88, vcc, s20, v203
	s_movk_i32 s12, 0x120
	v_mul_f32_e32 v0, v25, v60
	v_fma_f32 v3, v26, v59, -v0
	v_mul_f32_e32 v0, v5, v214
	v_fmac_f32_e32 v0, v4, v213
	s_waitcnt vmcnt(23)
	v_mul_f32_e32 v4, v7, v222
	v_mul_f32_e32 v5, v6, v222
	v_fmac_f32_e32 v4, v6, v221
	v_fma_f32 v5, v7, v221, -v5
	s_waitcnt vmcnt(21)
	v_mul_f32_e32 v6, v9, v210
	v_mul_f32_e32 v7, v8, v210
	v_fmac_f32_e32 v6, v8, v209
	v_fma_f32 v7, v9, v209, -v7
	;; [unrolled: 5-line block ×4, first 2 shown]
	s_waitcnt vmcnt(17)
	v_mul_f32_e32 v14, v17, v242
	v_mul_f32_e32 v15, v16, v242
	v_fmac_f32_e32 v2, v25, v59
	v_fmac_f32_e32 v14, v16, v241
	v_fma_f32 v15, v17, v241, -v15
	v_add_u32_e32 v16, 0x1400, v204
	ds_write2_b64 v16, v[2:3], v[14:15] offset0:80 offset1:224
	buffer_store_dword v61, off, s[24:27], 0 offset:164 ; 4-byte Folded Spill
	s_nop 0
	buffer_store_dword v62, off, s[24:27], 0 offset:168 ; 4-byte Folded Spill
	v_add_u32_e32 v14, 0x2800, v204
	s_waitcnt vmcnt(18)
	v_mul_f32_e32 v2, v19, v62
	v_mul_f32_e32 v3, v18, v62
	v_fmac_f32_e32 v2, v18, v61
	v_fma_f32 v3, v19, v61, -v3
	ds_write2_b64 v14, v[0:1], v[2:3] offset0:16 offset1:160
	buffer_store_dword v57, off, s[24:27], 0 offset:76 ; 4-byte Folded Spill
	s_nop 0
	buffer_store_dword v58, off, s[24:27], 0 offset:80 ; 4-byte Folded Spill
	v_add_u32_e32 v2, 0x3800, v204
	s_waitcnt vmcnt(19)
	v_mul_f32_e32 v0, v21, v58
	v_mul_f32_e32 v1, v20, v58
	v_fmac_f32_e32 v0, v20, v57
	v_fma_f32 v1, v21, v57, -v1
	;; [unrolled: 10-line block ×3, first 2 shown]
	ds_write2_b64 v2, v[6:7], v[0:1] offset0:16 offset1:160
	s_waitcnt vmcnt(15)
	v_mul_f32_e32 v0, v28, v226
	v_mul_f32_e32 v1, v27, v226
	v_fmac_f32_e32 v0, v27, v225
	v_fma_f32 v1, v28, v225, -v1
	v_add_u32_e32 v2, 0x5c00, v204
	ds_write2_b64 v2, v[8:9], v[0:1] offset0:80 offset1:224
	buffer_store_dword v45, off, s[24:27], 0 offset:36 ; 4-byte Folded Spill
	s_nop 0
	buffer_store_dword v46, off, s[24:27], 0 offset:40 ; 4-byte Folded Spill
	v_add_u32_e32 v8, 0x1000, v204
	v_mov_b32_e32 v250, v8
	v_mov_b32_e32 v207, v250
	v_mul_f32_e32 v0, v32, v46
	v_mul_f32_e32 v1, v31, v46
	v_fmac_f32_e32 v0, v31, v45
	v_fma_f32 v1, v32, v45, -v1
	ds_write2_b64 v208, v[12:13], v[0:1] offset0:32 offset1:176
	buffer_store_dword v43, off, s[24:27], 0 offset:28 ; 4-byte Folded Spill
	s_nop 0
	buffer_store_dword v44, off, s[24:27], 0 offset:32 ; 4-byte Folded Spill
	v_add_u32_e32 v12, 0x2400, v204
	v_mov_b32_e32 v237, v12
	v_add_u32_e32 v32, 0x2c00, v204
	v_mov_b32_e32 v77, v32
	v_mul_f32_e32 v0, v34, v44
	v_mul_f32_e32 v1, v33, v44
	v_fmac_f32_e32 v0, v33, v43
	v_fma_f32 v1, v34, v43, -v1
	ds_write_b64 v204, v[0:1] offset:8064
	buffer_store_dword v47, off, s[24:27], 0 offset:20 ; 4-byte Folded Spill
	s_nop 0
	buffer_store_dword v48, off, s[24:27], 0 offset:24 ; 4-byte Folded Spill
	v_mul_f32_e32 v0, v36, v48
	v_mul_f32_e32 v1, v35, v48
	v_fmac_f32_e32 v0, v35, v47
	v_fma_f32 v1, v36, v47, -v1
	ds_write_b64 v204, v[0:1] offset:12672
	s_waitcnt vmcnt(19)
	buffer_store_dword v53, off, s[24:27], 0 offset:44 ; 4-byte Folded Spill
	s_nop 0
	buffer_store_dword v54, off, s[24:27], 0 offset:48 ; 4-byte Folded Spill
	v_add_u32_e32 v36, 0x5000, v204
	v_mov_b32_e32 v79, v36
	v_mul_f32_e32 v0, v38, v54
	v_mul_f32_e32 v1, v37, v54
	v_fmac_f32_e32 v0, v37, v53
	v_fma_f32 v1, v38, v53, -v1
	ds_write_b64 v204, v[0:1] offset:17280
	buffer_store_dword v41, off, s[24:27], 0 offset:12 ; 4-byte Folded Spill
	s_nop 0
	buffer_store_dword v42, off, s[24:27], 0 offset:16 ; 4-byte Folded Spill
	s_waitcnt vmcnt(22)
	v_mul_f32_e32 v0, v11, v42
	v_mul_f32_e32 v1, v10, v42
	v_fmac_f32_e32 v0, v10, v41
	v_fma_f32 v1, v11, v41, -v1
	ds_write_b64 v204, v[0:1] offset:21888
	s_waitcnt vmcnt(20)
	buffer_store_dword v51, off, s[24:27], 0 offset:4 ; 4-byte Folded Spill
	s_nop 0
	buffer_store_dword v52, off, s[24:27], 0 offset:8 ; 4-byte Folded Spill
	v_mul_f32_e32 v0, v40, v52
	v_mul_f32_e32 v1, v39, v52
	v_fmac_f32_e32 v0, v39, v51
	v_fma_f32 v1, v40, v51, -v1
	ds_write_b64 v204, v[0:1] offset:26496
	s_waitcnt vmcnt(0) lgkmcnt(0)
	s_barrier
	ds_read2_b64 v[0:3], v204 offset1:144
	ds_read2_b64 v[4:7], v8 offset0:64 offset1:208
	ds_read2_b64 v[8:11], v12 offset1:144
	ds_read2_b64 v[12:15], v217 offset0:64 offset1:208
	;; [unrolled: 2-line block ×3, first 2 shown]
	ds_read2_b64 v[24:27], v208 offset0:32 offset1:176
	ds_read2_b64 v[28:31], v32 offset0:32 offset1:176
	;; [unrolled: 1-line block ×3, first 2 shown]
	s_waitcnt lgkmcnt(6)
	v_add_f32_e32 v36, v0, v8
	s_waitcnt lgkmcnt(4)
	v_add_f32_e32 v37, v8, v16
	v_sub_f32_e32 v41, v8, v16
	v_add_f32_e32 v8, v4, v12
	s_waitcnt lgkmcnt(3)
	v_add_f32_e32 v42, v8, v20
	v_add_f32_e32 v8, v5, v13
	;; [unrolled: 1-line block ×11, first 2 shown]
	s_waitcnt lgkmcnt(1)
	v_add_f32_e32 v8, v24, v28
	s_waitcnt lgkmcnt(0)
	v_add_f32_e32 v56, v8, v32
	v_add_f32_e32 v8, v25, v29
	v_add_f32_e32 v39, v1, v9
	v_add_f32_e32 v59, v8, v33
	v_add_f32_e32 v8, v26, v30
	v_add_f32_e32 v36, v36, v16
	v_sub_f32_e32 v38, v9, v17
	v_add_f32_e32 v39, v39, v17
	v_add_f32_e32 v40, v9, v17
	;; [unrolled: 1-line block ×3, first 2 shown]
	v_sub_f32_e32 v44, v13, v21
	v_add_f32_e32 v21, v13, v21
	v_sub_f32_e32 v20, v12, v20
	v_add_f32_e32 v47, v10, v18
	;; [unrolled: 2-line block ×6, first 2 shown]
	ds_read2_b64 v[8:11], v238 offset0:96 offset1:240
	ds_read2_b64 v[12:15], v219 offset0:96 offset1:240
	;; [unrolled: 1-line block ×3, first 2 shown]
	v_add_f32_e32 v57, v28, v32
	v_sub_f32_e32 v60, v28, v32
	v_add_f32_e32 v28, v27, v31
	v_sub_f32_e32 v58, v29, v33
	v_add_f32_e32 v33, v29, v33
	v_add_f32_e32 v64, v28, v35
	s_waitcnt lgkmcnt(1)
	v_add_f32_e32 v28, v8, v12
	s_waitcnt lgkmcnt(0)
	v_add_f32_e32 v29, v12, v16
	v_sub_f32_e32 v32, v12, v16
	v_add_f32_e32 v12, v10, v14
	v_add_f32_e32 v62, v30, v34
	v_sub_f32_e32 v66, v30, v34
	v_add_f32_e32 v34, v14, v18
	v_sub_f32_e32 v68, v14, v18
	v_add_f32_e32 v70, v12, v18
	v_fma_f32 v18, -0.5, v53, v6
	v_sub_f32_e32 v63, v31, v35
	v_add_f32_e32 v65, v31, v35
	v_add_f32_e32 v31, v9, v13
	v_fmac_f32_e32 v7, -0.5, v23
	v_mov_b32_e32 v23, v18
	v_fmac_f32_e32 v18, 0xbf5db3d7, v54
	v_sub_f32_e32 v30, v13, v17
	v_add_f32_e32 v13, v13, v17
	v_add_f32_e32 v35, v11, v15
	;; [unrolled: 1-line block ×4, first 2 shown]
	v_fma_f32 v16, -0.5, v43, v4
	v_fma_f32 v17, -0.5, v21, v5
	v_mov_b32_e32 v28, v7
	v_fmac_f32_e32 v7, 0x3f5db3d7, v22
	v_mul_f32_e32 v21, -0.5, v18
	v_sub_f32_e32 v67, v15, v19
	v_add_f32_e32 v15, v15, v19
	v_add_f32_e32 v71, v35, v19
	v_fmac_f32_e32 v21, 0x3f5db3d7, v7
	v_mul_f32_e32 v19, -0.5, v7
	v_mov_b32_e32 v7, v16
	v_fmac_f32_e32 v16, 0xbf5db3d7, v44
	v_fma_f32 v53, -0.5, v13, v9
	v_fma_f32 v72, -0.5, v34, v10
	;; [unrolled: 1-line block ×3, first 2 shown]
	v_mov_b32_e32 v9, v17
	v_fmac_f32_e32 v17, 0x3f5db3d7, v20
	v_mul_f32_e32 v13, -0.5, v16
	v_fmac_f32_e32 v11, -0.5, v15
	v_mov_b32_e32 v73, v72
	v_fmac_f32_e32 v72, 0xbf5db3d7, v67
	v_mov_b32_e32 v5, v0
	v_fmac_f32_e32 v0, 0xbf5db3d7, v38
	v_fmac_f32_e32 v7, 0x3f5db3d7, v44
	;; [unrolled: 1-line block ×3, first 2 shown]
	v_fma_f32 v43, -0.5, v29, v8
	v_mov_b32_e32 v74, v11
	v_fmac_f32_e32 v11, 0x3f5db3d7, v68
	v_mul_f32_e32 v75, -0.5, v72
	v_fmac_f32_e32 v9, 0xbf5db3d7, v20
	v_add_f32_e32 v8, v0, v13
	v_sub_f32_e32 v14, v0, v13
	v_mul_f32_e32 v0, 0xbf5db3d7, v7
	v_fma_f32 v1, -0.5, v40, v1
	v_fmac_f32_e32 v75, 0x3f5db3d7, v11
	v_mul_f32_e32 v76, -0.5, v11
	v_mul_f32_e32 v11, 0x3f5db3d7, v9
	v_fmac_f32_e32 v0, 0.5, v9
	v_mov_b32_e32 v9, v1
	v_fmac_f32_e32 v9, 0xbf5db3d7, v41
	v_fmac_f32_e32 v11, 0.5, v7
	v_add_f32_e32 v7, v9, v0
	v_sub_f32_e32 v13, v9, v0
	v_mul_f32_e32 v0, -0.5, v17
	v_fmac_f32_e32 v3, -0.5, v50
	v_fmac_f32_e32 v1, 0x3f5db3d7, v41
	v_fmac_f32_e32 v0, 0xbf5db3d7, v16
	;; [unrolled: 1-line block ×4, first 2 shown]
	v_fma_f32 v17, -0.5, v47, v2
	v_mov_b32_e32 v29, v3
	v_fmac_f32_e32 v3, 0x3f5db3d7, v51
	v_add_f32_e32 v9, v1, v0
	v_sub_f32_e32 v15, v1, v0
	v_fmac_f32_e32 v23, 0x3f5db3d7, v54
	v_add_f32_e32 v1, v3, v19
	v_sub_f32_e32 v19, v3, v19
	v_mov_b32_e32 v0, v17
	v_mul_f32_e32 v3, 0x3f5db3d7, v28
	v_fmac_f32_e32 v0, 0x3f5db3d7, v48
	v_fmac_f32_e32 v3, 0.5, v23
	v_fmac_f32_e32 v17, 0xbf5db3d7, v48
	v_fmac_f32_e32 v5, 0x3f5db3d7, v38
	v_add_f32_e32 v22, v0, v3
	v_sub_f32_e32 v16, v0, v3
	v_add_f32_e32 v0, v17, v21
	v_sub_f32_e32 v18, v17, v21
	v_mul_f32_e32 v17, 0xbf5db3d7, v23
	v_mov_b32_e32 v37, v43
	v_fmac_f32_e32 v43, 0xbf5db3d7, v30
	v_add_f32_e32 v6, v5, v11
	v_sub_f32_e32 v12, v5, v11
	v_add_f32_e32 v5, v39, v45
	v_sub_f32_e32 v11, v39, v45
	v_fmac_f32_e32 v29, 0xbf5db3d7, v51
	v_fmac_f32_e32 v17, 0.5, v28
	v_fma_f32 v24, -0.5, v57, v24
	v_mov_b32_e32 v39, v53
	v_fmac_f32_e32 v53, 0x3f5db3d7, v32
	v_mul_f32_e32 v38, -0.5, v43
	v_add_f32_e32 v23, v29, v17
	v_sub_f32_e32 v17, v29, v17
	v_mov_b32_e32 v29, v24
	v_fmac_f32_e32 v24, 0xbf5db3d7, v58
	v_fmac_f32_e32 v37, 0x3f5db3d7, v30
	;; [unrolled: 1-line block ×4, first 2 shown]
	v_fma_f32 v25, -0.5, v33, v25
	v_mul_f32_e32 v35, 0x3f5db3d7, v39
	v_add_f32_e32 v32, v24, v38
	v_sub_f32_e32 v38, v24, v38
	v_mul_f32_e32 v24, 0xbf5db3d7, v37
	v_mov_b32_e32 v33, v25
	v_fmac_f32_e32 v29, 0x3f5db3d7, v58
	v_fmac_f32_e32 v35, 0.5, v37
	v_fmac_f32_e32 v24, 0.5, v39
	v_fmac_f32_e32 v33, 0xbf5db3d7, v60
	v_add_f32_e32 v4, v36, v42
	v_sub_f32_e32 v10, v36, v42
	v_add_f32_e32 v30, v29, v35
	v_sub_f32_e32 v36, v29, v35
	;; [unrolled: 2-line block ×4, first 2 shown]
	v_mul_f32_e32 v24, -0.5, v53
	v_fmac_f32_e32 v27, -0.5, v65
	v_add_f32_e32 v21, v49, v55
	v_sub_f32_e32 v3, v49, v55
	v_fmac_f32_e32 v25, 0x3f5db3d7, v60
	v_fmac_f32_e32 v24, 0xbf5db3d7, v43
	v_fma_f32 v41, -0.5, v62, v26
	v_fmac_f32_e32 v74, 0xbf5db3d7, v68
	v_mov_b32_e32 v49, v27
	v_fmac_f32_e32 v27, 0x3f5db3d7, v66
	v_fmac_f32_e32 v76, 0xbf5db3d7, v72
	v_add_f32_e32 v33, v25, v24
	v_sub_f32_e32 v39, v25, v24
	v_fmac_f32_e32 v73, 0x3f5db3d7, v67
	v_add_f32_e32 v25, v27, v76
	v_sub_f32_e32 v43, v27, v76
	v_mov_b32_e32 v24, v41
	v_mul_f32_e32 v27, 0x3f5db3d7, v74
	v_fmac_f32_e32 v24, 0x3f5db3d7, v63
	v_fmac_f32_e32 v27, 0.5, v73
	v_fmac_f32_e32 v41, 0xbf5db3d7, v63
	v_sub_f32_e32 v2, v46, v52
	v_add_f32_e32 v20, v46, v52
	v_add_f32_e32 v46, v24, v27
	v_sub_f32_e32 v40, v24, v27
	v_add_f32_e32 v24, v41, v75
	v_sub_f32_e32 v42, v41, v75
	v_mul_f32_e32 v41, 0xbf5db3d7, v73
	v_fmac_f32_e32 v49, 0xbf5db3d7, v66
	v_fmac_f32_e32 v41, 0.5, v74
	v_add_f32_e32 v47, v49, v41
	v_sub_f32_e32 v41, v49, v41
	v_mul_lo_u16_e32 v49, 6, v203
	v_lshlrev_b32_e32 v49, 3, v49
	s_barrier
	ds_write_b128 v49, v[4:7]
	ds_write_b128 v49, v[8:11] offset:16
	v_mul_u32_u24_e32 v4, 6, v88
	v_add_co_u32_e32 v48, vcc, s12, v203
	v_lshlrev_b32_e32 v4, 3, v4
	s_movk_i32 s12, 0x1b0
	buffer_store_dword v49, off, s[24:27], 0 offset:112 ; 4-byte Folded Spill
	ds_write_b128 v49, v[12:15] offset:32
	buffer_store_dword v4, off, s[24:27], 0 offset:100 ; 4-byte Folded Spill
	ds_write_b128 v4, v[20:23]
	ds_write_b128 v4, v[0:3] offset:16
	ds_write_b128 v4, v[16:19] offset:32
	v_mul_u32_u24_e32 v0, 6, v48
	v_add_f32_e32 v28, v56, v69
	v_add_co_u32_e32 v72, vcc, s12, v203
	v_lshlrev_b32_e32 v0, 3, v0
	v_sub_f32_e32 v34, v56, v69
	buffer_store_dword v0, off, s[24:27], 0 offset:92 ; 4-byte Folded Spill
	ds_write_b128 v0, v[28:31]
	ds_write_b128 v0, v[32:35] offset:16
	ds_write_b128 v0, v[36:39] offset:32
	v_mul_u32_u24_e32 v0, 6, v72
	v_add_f32_e32 v44, v61, v70
	v_add_f32_e32 v45, v64, v71
	v_lshlrev_b32_e32 v0, 3, v0
	s_movk_i32 s12, 0xab
	v_sub_f32_e32 v26, v61, v70
	v_sub_f32_e32 v27, v64, v71
	buffer_store_dword v0, off, s[24:27], 0 offset:96 ; 4-byte Folded Spill
	ds_write_b128 v0, v[44:47]
	ds_write_b128 v0, v[24:27] offset:16
	ds_write_b128 v0, v[40:43] offset:32
	v_mul_lo_u16_sdwa v0, v203, s12 dst_sel:DWORD dst_unused:UNUSED_PAD src0_sel:BYTE_0 src1_sel:DWORD
	v_lshrrev_b16_e32 v38, 10, v0
	v_mul_lo_u16_e32 v0, 6, v38
	v_sub_u16_e32 v0, v203, v0
	v_and_b32_e32 v39, 0xff, v0
	v_mad_u64_u32 v[0:1], s[12:13], v39, 40, s[10:11]
	s_mov_b32 s12, 0xaaab
	v_mul_u32_u24_sdwa v2, v88, s12 dst_sel:DWORD dst_unused:UNUSED_PAD src0_sel:WORD_0 src1_sel:DWORD
	v_lshrrev_b32_e32 v34, 18, v2
	v_mul_lo_u16_e32 v2, 6, v34
	v_sub_u16_e32 v35, v88, v2
	v_mul_lo_u16_e32 v2, 40, v35
	v_add_co_u32_e32 v2, vcc, s10, v2
	v_addc_co_u32_e32 v3, vcc, 0, v80, vcc
	s_waitcnt vmcnt(0) lgkmcnt(0)
	s_barrier
	global_load_dwordx4 v[136:139], v[0:1], off
	global_load_dwordx4 v[132:135], v[2:3], off
	global_load_dwordx4 v[140:143], v[0:1], off offset:16
	global_load_dwordx4 v[144:147], v[2:3], off offset:16
	global_load_dwordx2 v[201:202], v[0:1], off offset:32
	global_load_dwordx2 v[205:206], v[2:3], off offset:32
	v_mul_u32_u24_sdwa v0, v48, s12 dst_sel:DWORD dst_unused:UNUSED_PAD src0_sel:WORD_0 src1_sel:DWORD
	v_lshrrev_b32_e32 v36, 18, v0
	v_mul_lo_u16_e32 v0, 6, v36
	v_sub_u16_e32 v37, v48, v0
	v_mul_lo_u16_e32 v0, 40, v37
	v_add_co_u32_e32 v0, vcc, s10, v0
	v_addc_co_u32_e32 v1, vcc, 0, v80, vcc
	global_load_dwordx4 v[128:131], v[0:1], off
	v_mul_u32_u24_sdwa v2, v72, s12 dst_sel:DWORD dst_unused:UNUSED_PAD src0_sel:WORD_0 src1_sel:DWORD
	v_lshrrev_b32_e32 v32, 18, v2
	v_mul_lo_u16_e32 v2, 6, v32
	v_sub_u16_e32 v33, v72, v2
	v_mul_lo_u16_e32 v2, 40, v33
	v_add_co_u32_e32 v2, vcc, s10, v2
	v_addc_co_u32_e32 v3, vcc, 0, v80, vcc
	global_load_dwordx4 v[120:123], v[2:3], off
	global_load_dwordx4 v[116:119], v[0:1], off offset:16
	global_load_dwordx4 v[124:127], v[2:3], off offset:16
	ds_read2_b64 v[40:43], v250 offset0:64 offset1:208
	ds_read2_b64 v[44:47], v237 offset1:144
	ds_read2_b64 v[49:52], v217 offset0:64 offset1:208
	ds_read2_b64 v[53:56], v164 offset1:144
	global_load_dwordx2 v[167:168], v[0:1], off offset:32
	global_load_dwordx2 v[165:166], v[2:3], off offset:32
	s_waitcnt vmcnt(10) lgkmcnt(3)
	v_mul_f32_e32 v1, v43, v133
	v_fma_f32 v6, v42, v132, -v1
	v_mul_f32_e32 v7, v42, v133
	v_mul_f32_e32 v0, v41, v137
	v_fma_f32 v4, v40, v136, -v0
	v_mul_f32_e32 v5, v40, v137
	s_waitcnt lgkmcnt(2)
	v_mul_f32_e32 v0, v45, v139
	v_mul_f32_e32 v1, v44, v139
	;; [unrolled: 1-line block ×4, first 2 shown]
	v_fmac_f32_e32 v5, v41, v136
	v_fma_f32 v0, v44, v138, -v0
	v_fmac_f32_e32 v7, v43, v132
	v_fmac_f32_e32 v1, v45, v138
	v_fma_f32 v8, v46, v134, -v3
	v_fmac_f32_e32 v9, v47, v134
	ds_read2_b64 v[40:43], v234 offset0:64 offset1:208
	ds_read2_b64 v[44:47], v238 offset0:96 offset1:240
	s_waitcnt vmcnt(9) lgkmcnt(3)
	v_mul_f32_e32 v2, v50, v141
	v_mul_f32_e32 v3, v49, v141
	s_waitcnt vmcnt(8)
	v_mul_f32_e32 v11, v52, v145
	s_waitcnt vmcnt(6) lgkmcnt(1)
	v_mul_f32_e32 v18, v43, v206
	v_mul_f32_e32 v19, v42, v206
	s_waitcnt vmcnt(5) lgkmcnt(0)
	v_mul_f32_e32 v20, v45, v129
	v_mul_f32_e32 v21, v44, v129
	v_fma_f32 v18, v42, v205, -v18
	v_fmac_f32_e32 v19, v43, v205
	v_fma_f32 v20, v44, v128, -v20
	v_fmac_f32_e32 v21, v45, v128
	ds_read2_b64 v[42:45], v77 offset0:32 offset1:176
	v_mul_f32_e32 v12, v51, v145
	v_fma_f32 v2, v49, v140, -v2
	v_fmac_f32_e32 v3, v50, v140
	v_fma_f32 v11, v51, v144, -v11
	v_fmac_f32_e32 v12, v52, v144
	ds_read2_b64 v[49:52], v219 offset0:96 offset1:240
	v_mul_f32_e32 v16, v41, v202
	s_waitcnt vmcnt(4)
	v_mul_f32_e32 v22, v47, v121
	v_fma_f32 v16, v40, v201, -v16
	v_mul_f32_e32 v17, v40, v202
	v_fma_f32 v40, v46, v120, -v22
	s_waitcnt lgkmcnt(1)
	v_mul_f32_e32 v22, v43, v131
	v_mul_f32_e32 v23, v42, v131
	;; [unrolled: 1-line block ×4, first 2 shown]
	v_fma_f32 v22, v42, v130, -v22
	v_fmac_f32_e32 v23, v43, v130
	v_fma_f32 v24, v44, v122, -v24
	v_fmac_f32_e32 v25, v45, v122
	ds_read2_b64 v[42:45], v79 offset0:32 offset1:176
	s_waitcnt vmcnt(3) lgkmcnt(1)
	v_mul_f32_e32 v26, v50, v117
	v_mul_f32_e32 v27, v49, v117
	s_waitcnt vmcnt(2)
	v_mul_f32_e32 v28, v52, v125
	v_mul_f32_e32 v29, v51, v125
	v_fma_f32 v26, v49, v116, -v26
	v_fmac_f32_e32 v27, v50, v116
	v_fma_f32 v28, v51, v124, -v28
	v_fmac_f32_e32 v29, v52, v124
	ds_read2_b64 v[49:52], v220 offset0:96 offset1:240
	s_waitcnt lgkmcnt(1)
	v_mul_f32_e32 v30, v43, v119
	v_fmac_f32_e32 v17, v41, v201
	v_mul_f32_e32 v41, v46, v121
	v_fma_f32 v30, v42, v118, -v30
	v_mul_f32_e32 v31, v42, v119
	v_mul_f32_e32 v42, v45, v127
	;; [unrolled: 1-line block ×3, first 2 shown]
	v_fmac_f32_e32 v41, v47, v120
	v_fma_f32 v46, v44, v126, -v42
	v_mul_f32_e32 v47, v44, v127
	s_waitcnt vmcnt(1) lgkmcnt(0)
	v_mul_f32_e32 v42, v50, v168
	v_fma_f32 v10, v53, v142, -v10
	v_mul_f32_e32 v13, v53, v143
	v_fmac_f32_e32 v31, v43, v118
	v_fmac_f32_e32 v47, v45, v126
	v_fma_f32 v53, v49, v167, -v42
	ds_read2_b64 v[42:45], v204 offset1:144
	v_fmac_f32_e32 v13, v54, v142
	v_mul_f32_e32 v14, v56, v147
	v_mul_f32_e32 v54, v49, v168
	s_waitcnt vmcnt(0)
	v_mul_f32_e32 v49, v52, v166
	v_fma_f32 v14, v55, v146, -v14
	v_mul_f32_e32 v15, v55, v147
	v_fma_f32 v55, v51, v165, -v49
	s_waitcnt lgkmcnt(0)
	v_add_f32_e32 v49, v43, v1
	v_fmac_f32_e32 v54, v50, v167
	v_add_f32_e32 v57, v49, v13
	v_sub_f32_e32 v58, v1, v13
	v_add_f32_e32 v1, v1, v13
	v_add_f32_e32 v13, v42, v0
	v_add_f32_e32 v50, v2, v16
	v_add_f32_e32 v13, v13, v10
	v_add_f32_e32 v49, v0, v10
	v_sub_f32_e32 v10, v0, v10
	v_add_f32_e32 v0, v4, v2
	v_fmac_f32_e32 v4, -0.5, v50
	v_add_f32_e32 v50, v5, v3
	v_sub_f32_e32 v60, v3, v17
	v_add_f32_e32 v3, v3, v17
	v_fmac_f32_e32 v5, -0.5, v3
	v_add_f32_e32 v59, v50, v17
	v_add_f32_e32 v17, v0, v16
	v_sub_f32_e32 v16, v2, v16
	v_mov_b32_e32 v2, v5
	v_mov_b32_e32 v0, v4
	v_fmac_f32_e32 v2, 0xbf5db3d7, v16
	v_fmac_f32_e32 v0, 0x3f5db3d7, v60
	v_mul_f32_e32 v61, 0x3f5db3d7, v2
	v_fmac_f32_e32 v61, 0.5, v0
	v_mul_f32_e32 v62, 0xbf5db3d7, v0
	v_mul_u32_u24_e32 v0, 36, v38
	v_fma_f32 v38, -0.5, v49, v42
	v_fma_f32 v42, -0.5, v1, v43
	v_mov_b32_e32 v43, v42
	v_fmac_f32_e32 v4, 0xbf5db3d7, v60
	v_add_lshl_u32 v216, v0, v39, 3
	v_mov_b32_e32 v39, v38
	v_fmac_f32_e32 v43, 0xbf5db3d7, v10
	v_fmac_f32_e32 v42, 0x3f5db3d7, v10
	v_fmac_f32_e32 v5, 0x3f5db3d7, v16
	v_mul_f32_e32 v10, -0.5, v4
	v_fmac_f32_e32 v62, 0.5, v2
	v_fmac_f32_e32 v39, 0x3f5db3d7, v58
	v_fmac_f32_e32 v10, 0x3f5db3d7, v5
	v_mul_f32_e32 v5, -0.5, v5
	v_fmac_f32_e32 v15, v56, v146
	v_mul_f32_e32 v56, v51, v166
	v_add_f32_e32 v0, v13, v17
	v_add_f32_e32 v1, v57, v59
	;; [unrolled: 1-line block ×4, first 2 shown]
	v_fmac_f32_e32 v38, 0xbf5db3d7, v58
	v_fmac_f32_e32 v5, 0xbf5db3d7, v4
	;; [unrolled: 1-line block ×3, first 2 shown]
	ds_read2_b64 v[49:52], v208 offset0:32 offset1:176
	s_waitcnt lgkmcnt(0)
	s_barrier
	ds_write2_b64 v216, v[0:1], v[2:3] offset1:6
	v_sub_f32_e32 v0, v13, v17
	v_sub_f32_e32 v1, v57, v59
	v_add_f32_e32 v2, v38, v10
	v_add_f32_e32 v3, v42, v5
	ds_write2_b64 v216, v[2:3], v[0:1] offset0:12 offset1:18
	v_sub_f32_e32 v0, v39, v61
	v_sub_f32_e32 v1, v43, v62
	;; [unrolled: 1-line block ×4, first 2 shown]
	ds_write2_b64 v216, v[0:1], v[2:3] offset0:24 offset1:30
	v_add_f32_e32 v2, v11, v18
	v_add_f32_e32 v0, v45, v9
	;; [unrolled: 1-line block ×3, first 2 shown]
	v_fmac_f32_e32 v6, -0.5, v2
	v_add_f32_e32 v2, v7, v12
	v_add_f32_e32 v4, v0, v15
	;; [unrolled: 1-line block ×5, first 2 shown]
	v_fmac_f32_e32 v45, -0.5, v0
	v_add_f32_e32 v0, v44, v8
	v_fmac_f32_e32 v7, -0.5, v2
	v_sub_f32_e32 v5, v9, v15
	v_add_f32_e32 v9, v0, v14
	v_add_f32_e32 v0, v8, v14
	v_sub_f32_e32 v13, v12, v19
	v_add_f32_e32 v12, v1, v18
	v_sub_f32_e32 v11, v11, v18
	v_mov_b32_e32 v1, v6
	v_mov_b32_e32 v2, v7
	v_fmac_f32_e32 v1, 0x3f5db3d7, v13
	v_fmac_f32_e32 v2, 0xbf5db3d7, v11
	v_fma_f32 v17, -0.5, v0, v44
	v_sub_f32_e32 v8, v8, v14
	v_mul_f32_e32 v14, 0x3f5db3d7, v2
	v_mul_f32_e32 v15, 0xbf5db3d7, v1
	v_mov_b32_e32 v18, v17
	v_mov_b32_e32 v19, v45
	v_fmac_f32_e32 v14, 0.5, v1
	v_fmac_f32_e32 v15, 0.5, v2
	v_mad_legacy_u16 v16, v34, 36, v35
	v_fmac_f32_e32 v18, 0x3f5db3d7, v5
	v_fmac_f32_e32 v19, 0xbf5db3d7, v8
	v_add_f32_e32 v0, v9, v12
	v_add_f32_e32 v1, v4, v10
	v_add_f32_e32 v2, v18, v14
	v_add_f32_e32 v3, v19, v15
	v_lshlrev_b32_e32 v16, 3, v16
	v_fmac_f32_e32 v6, 0xbf5db3d7, v13
	v_fmac_f32_e32 v7, 0x3f5db3d7, v11
	ds_write2_b64 v16, v[0:1], v[2:3] offset1:6
	v_sub_f32_e32 v1, v4, v10
	v_fmac_f32_e32 v17, 0xbf5db3d7, v5
	v_mul_f32_e32 v4, -0.5, v6
	v_mul_f32_e32 v5, -0.5, v7
	v_fmac_f32_e32 v45, 0x3f5db3d7, v8
	v_fmac_f32_e32 v4, 0x3f5db3d7, v7
	;; [unrolled: 1-line block ×3, first 2 shown]
	v_sub_f32_e32 v0, v9, v12
	v_add_f32_e32 v2, v17, v4
	v_add_f32_e32 v3, v45, v5
	ds_write2_b64 v16, v[2:3], v[0:1] offset0:12 offset1:18
	v_sub_f32_e32 v1, v45, v5
	v_sub_f32_e32 v0, v17, v4
	;; [unrolled: 1-line block ×4, first 2 shown]
	ds_write2_b64 v16, v[2:3], v[0:1] offset0:24 offset1:30
	v_add_f32_e32 v3, v26, v53
	v_add_f32_e32 v2, v20, v26
	v_fmac_f32_e32 v20, -0.5, v3
	v_add_f32_e32 v3, v21, v27
	v_add_f32_e32 v8, v3, v54
	;; [unrolled: 1-line block ×5, first 2 shown]
	v_fmac_f32_e32 v21, -0.5, v3
	v_add_f32_e32 v4, v0, v31
	v_add_f32_e32 v0, v23, v31
	;; [unrolled: 1-line block ×4, first 2 shown]
	v_sub_f32_e32 v9, v27, v54
	v_add_f32_e32 v10, v2, v53
	v_sub_f32_e32 v11, v26, v53
	v_mov_b32_e32 v2, v20
	v_mov_b32_e32 v3, v21
	v_fmac_f32_e32 v2, 0x3f5db3d7, v9
	v_fmac_f32_e32 v3, 0xbf5db3d7, v11
	v_fma_f32 v15, -0.5, v1, v49
	v_fma_f32 v17, -0.5, v0, v50
	buffer_store_dword v16, off, s[24:27], 0 offset:104 ; 4-byte Folded Spill
	v_sub_f32_e32 v5, v23, v31
	v_sub_f32_e32 v7, v22, v30
	v_mul_f32_e32 v12, 0x3f5db3d7, v3
	v_mul_f32_e32 v13, 0xbf5db3d7, v2
	v_mov_b32_e32 v16, v15
	v_mov_b32_e32 v18, v17
	v_fmac_f32_e32 v12, 0.5, v2
	v_fmac_f32_e32 v13, 0.5, v3
	v_mad_legacy_u16 v14, v36, 36, v37
	v_fmac_f32_e32 v16, 0x3f5db3d7, v5
	v_fmac_f32_e32 v18, 0xbf5db3d7, v7
	v_add_f32_e32 v0, v6, v10
	v_add_f32_e32 v1, v4, v8
	;; [unrolled: 1-line block ×4, first 2 shown]
	v_lshlrev_b32_e32 v50, 3, v14
	v_fmac_f32_e32 v20, 0xbf5db3d7, v9
	v_fmac_f32_e32 v21, 0x3f5db3d7, v11
	ds_write2_b64 v50, v[0:1], v[2:3] offset1:6
	v_sub_f32_e32 v1, v4, v8
	v_fmac_f32_e32 v15, 0xbf5db3d7, v5
	v_mul_f32_e32 v4, -0.5, v20
	v_mul_f32_e32 v5, -0.5, v21
	v_fmac_f32_e32 v17, 0x3f5db3d7, v7
	v_fmac_f32_e32 v4, 0x3f5db3d7, v21
	;; [unrolled: 1-line block ×3, first 2 shown]
	v_sub_f32_e32 v0, v6, v10
	v_add_f32_e32 v2, v15, v4
	v_add_f32_e32 v3, v17, v5
	ds_write2_b64 v50, v[2:3], v[0:1] offset0:12 offset1:18
	v_sub_f32_e32 v0, v16, v12
	v_sub_f32_e32 v1, v18, v13
	;; [unrolled: 1-line block ×4, first 2 shown]
	ds_write2_b64 v50, v[0:1], v[2:3] offset0:24 offset1:30
	v_add_f32_e32 v2, v28, v55
	v_add_f32_e32 v0, v52, v25
	;; [unrolled: 1-line block ×3, first 2 shown]
	v_fmac_f32_e32 v40, -0.5, v2
	v_add_f32_e32 v2, v41, v29
	v_add_f32_e32 v4, v0, v47
	;; [unrolled: 1-line block ×5, first 2 shown]
	v_fmac_f32_e32 v52, -0.5, v0
	v_add_f32_e32 v0, v51, v24
	v_fmac_f32_e32 v41, -0.5, v2
	v_add_f32_e32 v6, v0, v46
	v_add_f32_e32 v0, v24, v46
	v_sub_f32_e32 v9, v29, v56
	v_add_f32_e32 v10, v1, v55
	v_sub_f32_e32 v11, v28, v55
	v_mov_b32_e32 v1, v40
	v_mov_b32_e32 v2, v41
	v_fmac_f32_e32 v1, 0x3f5db3d7, v9
	v_fmac_f32_e32 v2, 0xbf5db3d7, v11
	v_fma_f32 v15, -0.5, v0, v51
	v_sub_f32_e32 v5, v25, v47
	v_sub_f32_e32 v7, v24, v46
	v_mul_f32_e32 v12, 0x3f5db3d7, v2
	v_mul_f32_e32 v13, 0xbf5db3d7, v1
	v_mov_b32_e32 v16, v15
	v_mov_b32_e32 v17, v52
	v_fmac_f32_e32 v12, 0.5, v1
	v_fmac_f32_e32 v13, 0.5, v2
	v_mad_legacy_u16 v14, v32, 36, v33
	v_fmac_f32_e32 v16, 0x3f5db3d7, v5
	v_fmac_f32_e32 v17, 0xbf5db3d7, v7
	v_add_f32_e32 v0, v6, v10
	v_add_f32_e32 v1, v4, v8
	;; [unrolled: 1-line block ×4, first 2 shown]
	v_lshlrev_b32_e32 v14, 3, v14
	v_fmac_f32_e32 v40, 0xbf5db3d7, v9
	v_fmac_f32_e32 v41, 0x3f5db3d7, v11
	ds_write2_b64 v14, v[0:1], v[2:3] offset1:6
	v_sub_f32_e32 v1, v4, v8
	v_fmac_f32_e32 v15, 0xbf5db3d7, v5
	v_mul_f32_e32 v4, -0.5, v40
	v_mul_f32_e32 v5, -0.5, v41
	v_fmac_f32_e32 v52, 0x3f5db3d7, v7
	v_fmac_f32_e32 v4, 0x3f5db3d7, v41
	;; [unrolled: 1-line block ×3, first 2 shown]
	v_sub_f32_e32 v0, v6, v10
	v_add_f32_e32 v2, v15, v4
	v_add_f32_e32 v3, v52, v5
	ds_write2_b64 v14, v[2:3], v[0:1] offset0:12 offset1:18
	v_sub_f32_e32 v1, v52, v5
	v_sub_f32_e32 v0, v15, v4
	;; [unrolled: 1-line block ×4, first 2 shown]
	ds_write2_b64 v14, v[2:3], v[0:1] offset0:24 offset1:30
	v_mov_b32_e32 v0, 57
	v_mul_lo_u16_sdwa v0, v203, v0 dst_sel:DWORD dst_unused:UNUSED_PAD src0_sel:BYTE_0 src1_sel:DWORD
	v_lshrrev_b16_e32 v70, 11, v0
	v_mul_lo_u16_e32 v0, 36, v70
	v_sub_u16_e32 v0, v203, v0
	v_and_b32_e32 v71, 0xff, v0
	v_mad_u64_u32 v[0:1], s[12:13], v71, 40, s[10:11]
	s_mov_b32 s12, 0xe38f
	v_mul_u32_u24_sdwa v2, v88, s12 dst_sel:DWORD dst_unused:UNUSED_PAD src0_sel:WORD_0 src1_sel:DWORD
	v_lshrrev_b32_e32 v68, 21, v2
	v_mul_lo_u16_e32 v2, 36, v68
	buffer_store_dword v14, off, s[24:27], 0 offset:108 ; 4-byte Folded Spill
	s_waitcnt vmcnt(0) lgkmcnt(0)
	s_barrier
	global_load_dwordx4 v[112:115], v[0:1], off offset:240
	v_sub_u16_e32 v69, v88, v2
	v_mul_lo_u16_e32 v2, 40, v69
	v_add_co_u32_e32 v2, vcc, s10, v2
	v_addc_co_u32_e32 v3, vcc, 0, v80, vcc
	global_load_dwordx4 v[148:151], v[2:3], off offset:240
	global_load_dwordx4 v[152:155], v[0:1], off offset:256
	;; [unrolled: 1-line block ×3, first 2 shown]
	global_load_dwordx2 v[160:161], v[0:1], off offset:272
	global_load_dwordx2 v[162:163], v[2:3], off offset:272
	v_mul_u32_u24_sdwa v0, v48, s12 dst_sel:DWORD dst_unused:UNUSED_PAD src0_sel:WORD_0 src1_sel:DWORD
	v_lshrrev_b32_e32 v66, 21, v0
	v_mul_lo_u16_e32 v0, 36, v66
	v_mul_u32_u24_sdwa v2, v72, s12 dst_sel:DWORD dst_unused:UNUSED_PAD src0_sel:WORD_0 src1_sel:DWORD
	v_sub_u16_e32 v67, v48, v0
	v_lshrrev_b32_e32 v64, 21, v2
	v_mul_lo_u16_e32 v0, 40, v67
	v_mul_lo_u16_e32 v2, 36, v64
	v_add_co_u32_e32 v0, vcc, s10, v0
	v_sub_u16_e32 v65, v72, v2
	v_addc_co_u32_e32 v1, vcc, 0, v80, vcc
	v_mul_lo_u16_e32 v2, 40, v65
	v_add_co_u32_e32 v2, vcc, s10, v2
	global_load_dwordx4 v[156:159], v[0:1], off offset:240
	v_addc_co_u32_e32 v3, vcc, 0, v80, vcc
	global_load_dwordx4 v[56:59], v[2:3], off offset:240
	global_load_dwordx4 v[60:63], v[0:1], off offset:256
	;; [unrolled: 1-line block ×3, first 2 shown]
	global_load_dwordx2 v[175:176], v[0:1], off offset:272
	global_load_dwordx2 v[173:174], v[2:3], off offset:272
	ds_read2_b64 v[73:76], v250 offset0:64 offset1:208
	ds_read2_b64 v[81:84], v237 offset1:144
	v_mov_b32_e32 v46, v77
	v_mov_b32_e32 v40, v79
	s_movk_i32 s12, 0xd8
	v_add_u32_e32 v42, 0x2800, v204
	v_mov_b32_e32 v51, v220
	v_mov_b32_e32 v44, v238
	s_waitcnt vmcnt(11) lgkmcnt(1)
	v_mul_f32_e32 v4, v74, v113
	v_mul_f32_e32 v5, v73, v113
	v_fma_f32 v4, v73, v112, -v4
	s_waitcnt vmcnt(10)
	v_mul_f32_e32 v0, v76, v149
	v_mul_f32_e32 v7, v75, v149
	v_fmac_f32_e32 v5, v74, v112
	v_fma_f32 v6, v75, v148, -v0
	v_fmac_f32_e32 v7, v76, v148
	ds_read2_b64 v[73:76], v217 offset0:64 offset1:208
	s_waitcnt lgkmcnt(1)
	v_mul_f32_e32 v0, v82, v115
	v_mul_f32_e32 v1, v81, v115
	;; [unrolled: 1-line block ×4, first 2 shown]
	v_fma_f32 v0, v81, v114, -v0
	v_fmac_f32_e32 v1, v82, v114
	v_fma_f32 v8, v83, v150, -v2
	v_fmac_f32_e32 v9, v84, v150
	s_waitcnt vmcnt(9) lgkmcnt(0)
	v_mul_f32_e32 v2, v74, v153
	v_mul_f32_e32 v3, v73, v153
	ds_read2_b64 v[81:84], v164 offset1:144
	s_waitcnt vmcnt(8)
	v_mul_f32_e32 v10, v76, v170
	v_mul_f32_e32 v11, v75, v170
	v_fma_f32 v2, v73, v152, -v2
	v_fmac_f32_e32 v3, v74, v152
	v_fma_f32 v10, v75, v169, -v10
	v_fmac_f32_e32 v11, v76, v169
	ds_read2_b64 v[73:76], v234 offset0:64 offset1:208
	s_waitcnt lgkmcnt(1)
	v_mul_f32_e32 v12, v82, v155
	v_mul_f32_e32 v13, v81, v155
	;; [unrolled: 1-line block ×4, first 2 shown]
	v_fma_f32 v12, v81, v154, -v12
	v_fmac_f32_e32 v13, v82, v154
	v_fma_f32 v14, v83, v171, -v14
	v_fmac_f32_e32 v15, v84, v171
	ds_read2_b64 v[81:84], v238 offset0:96 offset1:240
	s_waitcnt vmcnt(6) lgkmcnt(1)
	v_mul_f32_e32 v18, v76, v163
	v_mul_f32_e32 v19, v75, v163
	v_fma_f32 v18, v75, v162, -v18
	v_fmac_f32_e32 v19, v76, v162
	ds_read2_b64 v[75:78], v77 offset0:32 offset1:176
	v_mul_f32_e32 v16, v74, v161
	v_mul_f32_e32 v17, v73, v161
	s_waitcnt vmcnt(4) lgkmcnt(1)
	v_mul_f32_e32 v22, v84, v57
	v_fma_f32 v16, v73, v160, -v16
	v_fmac_f32_e32 v17, v74, v160
	v_mul_f32_e32 v20, v82, v157
	v_mul_f32_e32 v21, v81, v157
	v_fma_f32 v73, v83, v56, -v22
	v_mul_f32_e32 v74, v83, v57
	s_waitcnt lgkmcnt(0)
	v_mul_f32_e32 v22, v76, v159
	v_mul_f32_e32 v23, v75, v159
	;; [unrolled: 1-line block ×4, first 2 shown]
	v_fma_f32 v20, v81, v156, -v20
	v_fmac_f32_e32 v21, v82, v156
	v_fmac_f32_e32 v74, v84, v56
	v_fma_f32 v22, v75, v158, -v22
	v_fmac_f32_e32 v23, v76, v158
	ds_read2_b64 v[81:84], v219 offset0:96 offset1:240
	v_fma_f32 v24, v77, v58, -v24
	v_fmac_f32_e32 v25, v78, v58
	ds_read2_b64 v[75:78], v79 offset0:32 offset1:176
	v_sub_f32_e32 v39, v1, v13
	s_waitcnt vmcnt(3) lgkmcnt(1)
	v_mul_f32_e32 v26, v82, v61
	v_mul_f32_e32 v27, v81, v61
	s_waitcnt vmcnt(2)
	v_mul_f32_e32 v28, v84, v53
	v_mul_f32_e32 v29, v83, v53
	s_waitcnt lgkmcnt(0)
	v_mul_f32_e32 v30, v76, v63
	v_mul_f32_e32 v31, v75, v63
	;; [unrolled: 1-line block ×4, first 2 shown]
	v_fma_f32 v26, v81, v60, -v26
	v_fmac_f32_e32 v27, v82, v60
	v_fma_f32 v28, v83, v52, -v28
	v_fmac_f32_e32 v29, v84, v52
	;; [unrolled: 2-line block ×3, first 2 shown]
	ds_read2_b64 v[81:84], v220 offset0:96 offset1:240
	v_fma_f32 v32, v77, v54, -v32
	v_fmac_f32_e32 v33, v78, v54
	ds_read2_b64 v[75:78], v204 offset1:144
	v_add_f32_e32 v79, v0, v12
	s_waitcnt vmcnt(1) lgkmcnt(1)
	v_mul_f32_e32 v34, v82, v176
	v_fma_f32 v34, v81, v175, -v34
	v_mul_f32_e32 v35, v81, v176
	s_waitcnt lgkmcnt(0)
	v_add_f32_e32 v38, v76, v1
	v_add_f32_e32 v38, v38, v13
	;; [unrolled: 1-line block ×6, first 2 shown]
	v_sub_f32_e32 v12, v0, v12
	v_add_f32_e32 v0, v4, v2
	v_fmac_f32_e32 v4, -0.5, v81
	v_add_f32_e32 v81, v5, v3
	v_sub_f32_e32 v86, v3, v17
	v_add_f32_e32 v3, v3, v17
	v_fmac_f32_e32 v5, -0.5, v3
	v_add_f32_e32 v85, v81, v17
	v_add_f32_e32 v17, v0, v16
	v_sub_f32_e32 v16, v2, v16
	v_mov_b32_e32 v2, v5
	v_mov_b32_e32 v0, v4
	v_fmac_f32_e32 v2, 0xbf5db3d7, v16
	v_fmac_f32_e32 v0, 0x3f5db3d7, v86
	v_mul_f32_e32 v87, 0x3f5db3d7, v2
	v_fmac_f32_e32 v87, 0.5, v0
	v_mul_f32_e32 v89, 0xbf5db3d7, v0
	v_mul_u32_u24_e32 v0, 0xd8, v70
	v_fma_f32 v70, -0.5, v79, v75
	v_fma_f32 v75, -0.5, v1, v76
	v_mov_b32_e32 v76, v75
	v_fmac_f32_e32 v4, 0xbf5db3d7, v86
	v_add_lshl_u32 v41, v0, v71, 3
	v_mov_b32_e32 v71, v70
	v_fmac_f32_e32 v76, 0xbf5db3d7, v12
	v_fmac_f32_e32 v75, 0x3f5db3d7, v12
	;; [unrolled: 1-line block ×3, first 2 shown]
	v_mul_f32_e32 v12, -0.5, v4
	v_fmac_f32_e32 v89, 0.5, v2
	v_fmac_f32_e32 v71, 0x3f5db3d7, v39
	v_fmac_f32_e32 v12, 0x3f5db3d7, v5
	v_mul_f32_e32 v5, -0.5, v5
	s_waitcnt vmcnt(0)
	v_mul_f32_e32 v36, v84, v174
	v_mul_f32_e32 v37, v83, v174
	v_add_f32_e32 v0, v13, v17
	v_add_f32_e32 v1, v38, v85
	v_add_f32_e32 v2, v71, v87
	v_add_f32_e32 v3, v76, v89
	v_fmac_f32_e32 v70, 0xbf5db3d7, v39
	v_fmac_f32_e32 v5, 0xbf5db3d7, v4
	;; [unrolled: 1-line block ×3, first 2 shown]
	v_fma_f32 v36, v83, v173, -v36
	v_fmac_f32_e32 v37, v84, v173
	buffer_store_dword v41, off, s[24:27], 0 offset:116 ; 4-byte Folded Spill
	ds_read2_b64 v[81:84], v208 offset0:32 offset1:176
	s_waitcnt vmcnt(0) lgkmcnt(0)
	s_barrier
	ds_write2_b64 v41, v[0:1], v[2:3] offset1:36
	v_sub_f32_e32 v0, v13, v17
	v_sub_f32_e32 v1, v38, v85
	v_add_f32_e32 v2, v70, v12
	v_add_f32_e32 v3, v75, v5
	ds_write2_b64 v41, v[2:3], v[0:1] offset0:72 offset1:108
	v_sub_f32_e32 v0, v71, v87
	v_sub_f32_e32 v1, v76, v89
	v_sub_f32_e32 v2, v70, v12
	v_sub_f32_e32 v3, v75, v5
	ds_write2_b64 v41, v[0:1], v[2:3] offset0:144 offset1:180
	v_add_f32_e32 v2, v10, v18
	v_add_f32_e32 v0, v78, v9
	;; [unrolled: 1-line block ×3, first 2 shown]
	v_fmac_f32_e32 v6, -0.5, v2
	v_add_f32_e32 v2, v7, v11
	v_add_f32_e32 v4, v0, v15
	;; [unrolled: 1-line block ×5, first 2 shown]
	v_fmac_f32_e32 v78, -0.5, v0
	v_add_f32_e32 v0, v77, v8
	v_fmac_f32_e32 v7, -0.5, v2
	v_sub_f32_e32 v5, v9, v15
	v_add_f32_e32 v9, v0, v14
	v_add_f32_e32 v0, v8, v14
	v_sub_f32_e32 v13, v11, v19
	v_add_f32_e32 v11, v1, v18
	v_sub_f32_e32 v10, v10, v18
	v_mov_b32_e32 v1, v6
	v_mov_b32_e32 v2, v7
	v_fmac_f32_e32 v1, 0x3f5db3d7, v13
	v_fmac_f32_e32 v2, 0xbf5db3d7, v10
	v_fma_f32 v17, -0.5, v0, v77
	v_sub_f32_e32 v8, v8, v14
	v_mul_f32_e32 v14, 0x3f5db3d7, v2
	v_mul_f32_e32 v15, 0xbf5db3d7, v1
	v_mov_b32_e32 v18, v17
	v_mov_b32_e32 v19, v78
	v_fmac_f32_e32 v14, 0.5, v1
	v_fmac_f32_e32 v15, 0.5, v2
	v_mad_legacy_u16 v16, v68, s12, v69
	v_fmac_f32_e32 v18, 0x3f5db3d7, v5
	v_fmac_f32_e32 v19, 0xbf5db3d7, v8
	v_add_f32_e32 v0, v9, v11
	v_add_f32_e32 v1, v4, v12
	;; [unrolled: 1-line block ×4, first 2 shown]
	v_lshlrev_b32_e32 v16, 3, v16
	v_fmac_f32_e32 v6, 0xbf5db3d7, v13
	v_fmac_f32_e32 v7, 0x3f5db3d7, v10
	ds_write2_b64 v16, v[0:1], v[2:3] offset1:36
	v_sub_f32_e32 v1, v4, v12
	v_fmac_f32_e32 v17, 0xbf5db3d7, v5
	v_mul_f32_e32 v4, -0.5, v6
	v_mul_f32_e32 v5, -0.5, v7
	v_fmac_f32_e32 v78, 0x3f5db3d7, v8
	v_fmac_f32_e32 v4, 0x3f5db3d7, v7
	;; [unrolled: 1-line block ×3, first 2 shown]
	v_sub_f32_e32 v0, v9, v11
	v_add_f32_e32 v2, v17, v4
	v_add_f32_e32 v3, v78, v5
	ds_write2_b64 v16, v[2:3], v[0:1] offset0:72 offset1:108
	v_sub_f32_e32 v1, v78, v5
	v_sub_f32_e32 v0, v17, v4
	;; [unrolled: 1-line block ×4, first 2 shown]
	ds_write2_b64 v16, v[2:3], v[0:1] offset0:144 offset1:180
	v_add_f32_e32 v3, v26, v34
	v_add_f32_e32 v2, v20, v26
	v_fmac_f32_e32 v20, -0.5, v3
	v_add_f32_e32 v3, v21, v27
	v_add_f32_e32 v8, v3, v35
	;; [unrolled: 1-line block ×5, first 2 shown]
	v_fmac_f32_e32 v21, -0.5, v3
	v_add_f32_e32 v4, v0, v31
	v_add_f32_e32 v0, v23, v31
	;; [unrolled: 1-line block ×4, first 2 shown]
	v_sub_f32_e32 v9, v27, v35
	v_add_f32_e32 v10, v2, v34
	v_sub_f32_e32 v11, v26, v34
	v_mov_b32_e32 v2, v20
	v_mov_b32_e32 v3, v21
	v_fmac_f32_e32 v2, 0x3f5db3d7, v9
	v_fmac_f32_e32 v3, 0xbf5db3d7, v11
	v_fma_f32 v15, -0.5, v1, v81
	v_fma_f32 v17, -0.5, v0, v82
	buffer_store_dword v16, off, s[24:27], 0 offset:120 ; 4-byte Folded Spill
	v_sub_f32_e32 v5, v23, v31
	v_sub_f32_e32 v7, v22, v30
	v_mul_f32_e32 v12, 0x3f5db3d7, v3
	v_mul_f32_e32 v13, 0xbf5db3d7, v2
	v_mov_b32_e32 v16, v15
	v_mov_b32_e32 v18, v17
	v_fmac_f32_e32 v12, 0.5, v2
	v_fmac_f32_e32 v13, 0.5, v3
	v_mad_legacy_u16 v14, v66, s12, v67
	v_fmac_f32_e32 v16, 0x3f5db3d7, v5
	v_fmac_f32_e32 v18, 0xbf5db3d7, v7
	v_add_f32_e32 v0, v6, v10
	v_add_f32_e32 v1, v4, v8
	;; [unrolled: 1-line block ×4, first 2 shown]
	v_lshlrev_b32_e32 v14, 3, v14
	v_fmac_f32_e32 v20, 0xbf5db3d7, v9
	v_fmac_f32_e32 v21, 0x3f5db3d7, v11
	ds_write2_b64 v14, v[0:1], v[2:3] offset1:36
	v_sub_f32_e32 v1, v4, v8
	v_fmac_f32_e32 v15, 0xbf5db3d7, v5
	v_mul_f32_e32 v4, -0.5, v20
	v_mul_f32_e32 v5, -0.5, v21
	v_fmac_f32_e32 v17, 0x3f5db3d7, v7
	v_fmac_f32_e32 v4, 0x3f5db3d7, v21
	;; [unrolled: 1-line block ×3, first 2 shown]
	v_sub_f32_e32 v0, v6, v10
	v_add_f32_e32 v2, v15, v4
	v_add_f32_e32 v3, v17, v5
	ds_write2_b64 v14, v[2:3], v[0:1] offset0:72 offset1:108
	v_sub_f32_e32 v0, v16, v12
	v_sub_f32_e32 v1, v18, v13
	;; [unrolled: 1-line block ×4, first 2 shown]
	ds_write2_b64 v14, v[0:1], v[2:3] offset0:144 offset1:180
	v_add_f32_e32 v2, v28, v36
	v_add_f32_e32 v0, v84, v25
	;; [unrolled: 1-line block ×3, first 2 shown]
	v_fmac_f32_e32 v73, -0.5, v2
	v_add_f32_e32 v2, v74, v29
	v_add_f32_e32 v4, v0, v33
	;; [unrolled: 1-line block ×5, first 2 shown]
	v_fmac_f32_e32 v84, -0.5, v0
	v_add_f32_e32 v0, v83, v24
	v_fmac_f32_e32 v74, -0.5, v2
	v_add_f32_e32 v6, v0, v32
	v_add_f32_e32 v0, v24, v32
	v_sub_f32_e32 v9, v29, v37
	v_add_f32_e32 v10, v1, v36
	v_sub_f32_e32 v11, v28, v36
	v_mov_b32_e32 v1, v73
	v_mov_b32_e32 v2, v74
	v_fmac_f32_e32 v1, 0x3f5db3d7, v9
	v_fmac_f32_e32 v2, 0xbf5db3d7, v11
	v_fma_f32 v15, -0.5, v0, v83
	v_sub_f32_e32 v5, v25, v33
	v_sub_f32_e32 v7, v24, v32
	v_mul_f32_e32 v12, 0x3f5db3d7, v2
	v_mul_f32_e32 v13, 0xbf5db3d7, v1
	v_mov_b32_e32 v16, v15
	v_mov_b32_e32 v17, v84
	buffer_store_dword v14, off, s[24:27], 0 offset:124 ; 4-byte Folded Spill
	v_fmac_f32_e32 v12, 0.5, v1
	v_fmac_f32_e32 v13, 0.5, v2
	v_mad_legacy_u16 v14, v64, s12, v65
	v_fmac_f32_e32 v16, 0x3f5db3d7, v5
	v_fmac_f32_e32 v17, 0xbf5db3d7, v7
	v_add_f32_e32 v0, v6, v10
	v_add_f32_e32 v1, v4, v8
	v_add_f32_e32 v2, v16, v12
	v_add_f32_e32 v3, v17, v13
	v_lshlrev_b32_e32 v14, 3, v14
	v_fmac_f32_e32 v73, 0xbf5db3d7, v9
	v_fmac_f32_e32 v74, 0x3f5db3d7, v11
	ds_write2_b64 v14, v[0:1], v[2:3] offset1:36
	v_sub_f32_e32 v1, v4, v8
	v_fmac_f32_e32 v15, 0xbf5db3d7, v5
	v_mul_f32_e32 v4, -0.5, v73
	v_mul_f32_e32 v5, -0.5, v74
	v_fmac_f32_e32 v84, 0x3f5db3d7, v7
	v_fmac_f32_e32 v4, 0x3f5db3d7, v74
	;; [unrolled: 1-line block ×3, first 2 shown]
	v_sub_f32_e32 v0, v6, v10
	v_add_f32_e32 v2, v15, v4
	v_add_f32_e32 v3, v84, v5
	ds_write2_b64 v14, v[2:3], v[0:1] offset0:72 offset1:108
	v_sub_f32_e32 v1, v84, v5
	v_sub_f32_e32 v0, v15, v4
	v_sub_f32_e32 v2, v16, v12
	v_sub_f32_e32 v3, v17, v13
	s_movk_i32 s12, 0x48
	ds_write2_b64 v14, v[2:3], v[0:1] offset0:144 offset1:180
	v_add_u32_e32 v0, 0xffffffb8, v203
	v_cmp_gt_u16_e32 vcc, s12, v203
	v_cndmask_b32_e32 v8, v0, v88, vcc
	v_mad_u64_u32 v[96:97], s[12:13], v203, 24, s[10:11]
	v_mul_i32_i24_e32 v0, 24, v8
	v_mul_hi_i32_i24_e32 v1, 24, v8
	v_add_co_u32_e32 v0, vcc, s10, v0
	v_addc_co_u32_e32 v1, vcc, v80, v1, vcc
	buffer_store_dword v14, off, s[24:27], 0 offset:128 ; 4-byte Folded Spill
	s_waitcnt vmcnt(0) lgkmcnt(0)
	s_barrier
	global_load_dwordx4 v[68:71], v[96:97], off offset:1680
	global_load_dwordx4 v[64:67], v[0:1], off offset:1680
	global_load_dwordx2 v[179:180], v[96:97], off offset:1696
	global_load_dwordx2 v[177:178], v[0:1], off offset:1696
	v_lshrrev_b16_e32 v0, 3, v72
	v_mul_u32_u24_e32 v0, 0x12f7, v0
	v_lshrrev_b32_e32 v0, 17, v0
	v_mul_lo_u16_e32 v0, 0xd8, v0
	v_sub_u16_e32 v9, v72, v0
	v_mul_lo_u16_e32 v0, 24, v9
	v_add_co_u32_e32 v0, vcc, s10, v0
	v_addc_co_u32_e32 v1, vcc, 0, v80, vcc
	global_load_dwordx4 v[76:79], v[96:97], off offset:3408
	global_load_dwordx4 v[72:75], v[0:1], off offset:1680
	global_load_dwordx2 v[181:182], v[0:1], off offset:1696
	global_load_dwordx2 v[183:184], v[96:97], off offset:3424
	v_add_u16_e32 v0, 0x240, v203
	v_lshrrev_b16_e32 v1, 3, v0
	v_mul_u32_u24_e32 v1, 0x12f7, v1
	v_lshrrev_b32_e32 v10, 17, v1
	v_mul_lo_u16_e32 v1, 0xd8, v10
	v_sub_u16_e32 v11, v0, v1
	v_add_u16_e32 v0, 0x2d0, v203
	v_lshrrev_b16_e32 v1, 3, v0
	v_mul_u32_u24_e32 v1, 0x12f7, v1
	v_lshrrev_b32_e32 v1, 17, v1
	v_mul_lo_u16_e32 v1, 0xd8, v1
	v_sub_u16_e32 v12, v0, v1
	v_mul_lo_u16_e32 v0, 24, v11
	v_add_co_u32_e32 v0, vcc, s10, v0
	v_addc_co_u32_e32 v1, vcc, 0, v80, vcc
	v_mul_lo_u16_e32 v2, 24, v12
	global_load_dwordx4 v[84:87], v[0:1], off offset:1680
	v_add_co_u32_e32 v2, vcc, s10, v2
	v_addc_co_u32_e32 v3, vcc, 0, v80, vcc
	global_load_dwordx4 v[80:83], v[2:3], off offset:1680
	global_load_dwordx2 v[187:188], v[0:1], off offset:1696
	global_load_dwordx2 v[185:186], v[2:3], off offset:1696
	ds_read2_b64 v[89:92], v238 offset0:96 offset1:240
	ds_read2_b64 v[98:101], v217 offset0:64 offset1:208
	s_movk_i32 s12, 0x47
	v_cmp_lt_u16_e32 vcc, s12, v203
	s_movk_i32 s12, 0x360
	v_mov_b32_e32 v41, v219
	s_waitcnt vmcnt(10) lgkmcnt(1)
	v_mul_f32_e32 v2, v92, v65
	v_mul_f32_e32 v0, v90, v69
	;; [unrolled: 1-line block ×4, first 2 shown]
	v_fma_f32 v0, v89, v68, -v0
	v_fmac_f32_e32 v1, v90, v68
	v_fma_f32 v13, v91, v64, -v2
	v_fmac_f32_e32 v14, v92, v64
	s_waitcnt lgkmcnt(0)
	v_mul_f32_e32 v2, v99, v71
	v_mul_f32_e32 v3, v98, v71
	ds_read2_b64 v[89:92], v40 offset0:32 offset1:176
	v_mul_f32_e32 v4, v101, v67
	v_mul_f32_e32 v16, v100, v67
	v_fma_f32 v2, v98, v70, -v2
	v_fmac_f32_e32 v3, v99, v70
	v_fma_f32 v15, v100, v66, -v4
	v_fmac_f32_e32 v16, v101, v66
	ds_read2_b64 v[98:101], v237 offset1:144
	s_waitcnt vmcnt(9) lgkmcnt(1)
	v_mul_f32_e32 v4, v90, v180
	v_mul_f32_e32 v5, v89, v180
	s_waitcnt vmcnt(8)
	v_mul_f32_e32 v6, v92, v178
	v_mul_f32_e32 v18, v91, v178
	v_fma_f32 v4, v89, v179, -v4
	v_fmac_f32_e32 v5, v90, v179
	v_fma_f32 v17, v91, v177, -v6
	v_fmac_f32_e32 v18, v92, v177
	s_waitcnt vmcnt(7) lgkmcnt(0)
	v_mul_f32_e32 v6, v99, v77
	ds_read2_b64 v[89:92], v219 offset0:96 offset1:240
	v_fma_f32 v19, v98, v76, -v6
	v_mul_f32_e32 v20, v98, v77
	s_waitcnt vmcnt(6)
	v_mul_f32_e32 v6, v101, v73
	v_mul_f32_e32 v22, v100, v73
	v_fmac_f32_e32 v20, v99, v76
	v_fma_f32 v21, v100, v72, -v6
	v_fmac_f32_e32 v22, v101, v72
	ds_read2_b64 v[98:101], v234 offset0:64 offset1:208
	s_waitcnt lgkmcnt(1)
	v_mul_f32_e32 v6, v90, v79
	v_fma_f32 v23, v89, v78, -v6
	v_mul_f32_e32 v24, v89, v79
	v_mul_f32_e32 v6, v92, v75
	;; [unrolled: 1-line block ×3, first 2 shown]
	v_fmac_f32_e32 v24, v90, v78
	v_fma_f32 v25, v91, v74, -v6
	v_fmac_f32_e32 v26, v92, v74
	s_waitcnt vmcnt(4) lgkmcnt(0)
	v_mul_f32_e32 v6, v99, v184
	ds_read2_b64 v[89:92], v46 offset0:32 offset1:176
	v_fma_f32 v27, v98, v183, -v6
	v_mul_f32_e32 v28, v98, v184
	v_mul_f32_e32 v6, v101, v182
	;; [unrolled: 1-line block ×3, first 2 shown]
	v_fmac_f32_e32 v28, v99, v183
	v_fma_f32 v29, v100, v181, -v6
	v_fmac_f32_e32 v30, v101, v181
	ds_read2_b64 v[98:101], v164 offset1:144
	s_waitcnt vmcnt(3) lgkmcnt(1)
	v_mul_f32_e32 v6, v90, v85
	v_fma_f32 v31, v89, v84, -v6
	v_mul_f32_e32 v32, v89, v85
	s_waitcnt vmcnt(2)
	v_mul_f32_e32 v6, v92, v81
	v_mul_f32_e32 v34, v91, v81
	v_fmac_f32_e32 v32, v90, v84
	v_fma_f32 v33, v91, v80, -v6
	v_fmac_f32_e32 v34, v92, v80
	s_waitcnt lgkmcnt(0)
	v_mul_f32_e32 v6, v99, v87
	ds_read2_b64 v[89:92], v220 offset0:96 offset1:240
	v_fma_f32 v35, v98, v86, -v6
	v_mul_f32_e32 v36, v98, v87
	v_mul_f32_e32 v6, v101, v83
	;; [unrolled: 1-line block ×3, first 2 shown]
	v_fmac_f32_e32 v36, v99, v86
	v_fma_f32 v37, v100, v82, -v6
	v_fmac_f32_e32 v38, v101, v82
	ds_read2_b64 v[98:101], v204 offset1:144
	s_waitcnt vmcnt(1) lgkmcnt(1)
	v_mul_f32_e32 v6, v90, v188
	v_fma_f32 v39, v89, v187, -v6
	s_waitcnt vmcnt(0)
	v_mul_f32_e32 v6, v92, v186
	v_mul_f32_e32 v93, v89, v188
	v_fma_f32 v94, v91, v185, -v6
	s_waitcnt lgkmcnt(0)
	v_sub_f32_e32 v6, v98, v2
	v_sub_f32_e32 v7, v99, v3
	;; [unrolled: 1-line block ×4, first 2 shown]
	v_fma_f32 v0, v0, 2.0, -v89
	v_fma_f32 v1, v1, 2.0, -v4
	;; [unrolled: 1-line block ×4, first 2 shown]
	v_sub_f32_e32 v0, v2, v0
	v_sub_f32_e32 v1, v3, v1
	;; [unrolled: 1-line block ×3, first 2 shown]
	v_add_f32_e32 v5, v7, v89
	v_mul_f32_e32 v95, v91, v186
	v_fma_f32 v2, v2, 2.0, -v0
	v_fma_f32 v3, v3, 2.0, -v1
	;; [unrolled: 1-line block ×4, first 2 shown]
	v_fmac_f32_e32 v93, v90, v187
	v_fmac_f32_e32 v95, v92, v185
	ds_read2_b64 v[89:92], v208 offset0:32 offset1:176
	ds_read2_b64 v[102:105], v250 offset0:64 offset1:208
	s_waitcnt lgkmcnt(0)
	s_barrier
	ds_write2_b64 v204, v[2:3], v[6:7] offset1:216
	v_add_u32_e32 v2, 0xd00, v204
	ds_write2_b64 v2, v[0:1], v[4:5] offset0:16 offset1:232
	v_sub_f32_e32 v6, v100, v15
	v_sub_f32_e32 v7, v101, v16
	;; [unrolled: 1-line block ×4, first 2 shown]
	v_fma_f32 v2, v100, 2.0, -v6
	v_fma_f32 v3, v101, 2.0, -v7
	;; [unrolled: 1-line block ×4, first 2 shown]
	v_mov_b32_e32 v13, 0x360
	v_sub_f32_e32 v0, v2, v0
	v_sub_f32_e32 v1, v3, v1
	;; [unrolled: 1-line block ×3, first 2 shown]
	v_add_f32_e32 v5, v7, v5
	v_cndmask_b32_e32 v13, 0, v13, vcc
	v_fma_f32 v2, v2, 2.0, -v0
	v_fma_f32 v3, v3, 2.0, -v1
	;; [unrolled: 1-line block ×4, first 2 shown]
	v_add_lshl_u32 v8, v8, v13, 3
	ds_write2_b64 v8, v[2:3], v[6:7] offset1:216
	v_add_u32_e32 v2, 0xd00, v8
	ds_write2_b64 v2, v[0:1], v[4:5] offset0:16 offset1:232
	v_sub_f32_e32 v6, v89, v23
	v_sub_f32_e32 v7, v90, v24
	;; [unrolled: 1-line block ×4, first 2 shown]
	buffer_store_dword v2, off, s[24:27], 0 offset:148 ; 4-byte Folded Spill
	v_fma_f32 v0, v19, 2.0, -v5
	v_fma_f32 v1, v20, 2.0, -v4
	;; [unrolled: 1-line block ×4, first 2 shown]
	v_sub_f32_e32 v0, v2, v0
	v_sub_f32_e32 v1, v3, v1
	v_sub_f32_e32 v4, v6, v4
	v_add_f32_e32 v5, v7, v5
	buffer_store_dword v8, off, s[24:27], 0 offset:152 ; 4-byte Folded Spill
	v_fma_f32 v2, v2, 2.0, -v0
	v_fma_f32 v3, v3, 2.0, -v1
	;; [unrolled: 1-line block ×4, first 2 shown]
	v_add_u32_e32 v8, 0x1d00, v204
	ds_write2_b64 v8, v[2:3], v[6:7] offset0:8 offset1:224
	v_add_u32_e32 v2, 0x2a00, v204
	ds_write2_b64 v2, v[0:1], v[4:5] offset0:24 offset1:240
	v_sub_f32_e32 v6, v91, v25
	v_sub_f32_e32 v7, v92, v26
	;; [unrolled: 1-line block ×4, first 2 shown]
	v_fma_f32 v2, v91, 2.0, -v6
	v_fma_f32 v3, v92, 2.0, -v7
	;; [unrolled: 1-line block ×4, first 2 shown]
	v_sub_f32_e32 v0, v2, v0
	v_sub_f32_e32 v1, v3, v1
	v_sub_f32_e32 v4, v6, v4
	v_add_f32_e32 v5, v7, v5
	v_lshlrev_b32_e32 v8, 3, v9
	v_fma_f32 v2, v2, 2.0, -v0
	v_fma_f32 v3, v3, 2.0, -v1
	;; [unrolled: 1-line block ×4, first 2 shown]
	v_add_u32_e32 v9, 0x3600, v8
	ds_write2_b64 v9, v[2:3], v[6:7] offset1:216
	v_add_u32_e32 v2, 0x4300, v8
	ds_write2_b64 v2, v[0:1], v[4:5] offset0:16 offset1:232
	v_sub_f32_e32 v6, v102, v35
	v_sub_f32_e32 v7, v103, v36
	;; [unrolled: 1-line block ×4, first 2 shown]
	buffer_store_dword v2, off, s[24:27], 0 offset:160 ; 4-byte Folded Spill
	v_fma_f32 v0, v31, 2.0, -v5
	v_fma_f32 v1, v32, 2.0, -v4
	;; [unrolled: 1-line block ×4, first 2 shown]
	v_sub_f32_e32 v0, v2, v0
	v_sub_f32_e32 v1, v3, v1
	;; [unrolled: 1-line block ×3, first 2 shown]
	v_add_f32_e32 v5, v7, v5
	v_mad_legacy_u16 v8, v10, s12, v11
	v_fma_f32 v2, v2, 2.0, -v0
	v_fma_f32 v3, v3, 2.0, -v1
	;; [unrolled: 1-line block ×4, first 2 shown]
	v_lshlrev_b32_e32 v8, 3, v8
	ds_write2_b64 v8, v[2:3], v[6:7] offset1:216
	v_add_u32_e32 v2, 0xd00, v8
	ds_write2_b64 v2, v[0:1], v[4:5] offset0:16 offset1:232
	v_sub_f32_e32 v6, v104, v37
	v_sub_f32_e32 v7, v105, v38
	;; [unrolled: 1-line block ×4, first 2 shown]
	buffer_store_dword v2, off, s[24:27], 0 offset:132 ; 4-byte Folded Spill
	v_fma_f32 v2, v104, 2.0, -v6
	v_fma_f32 v3, v105, 2.0, -v7
	;; [unrolled: 1-line block ×4, first 2 shown]
	buffer_store_dword v8, off, s[24:27], 0 offset:144 ; 4-byte Folded Spill
	v_sub_f32_e32 v0, v2, v0
	v_sub_f32_e32 v1, v3, v1
	;; [unrolled: 1-line block ×3, first 2 shown]
	v_add_f32_e32 v5, v7, v5
	v_lshlrev_b32_e32 v8, 3, v12
	buffer_store_dword v9, off, s[24:27], 0 offset:156 ; 4-byte Folded Spill
	v_fma_f32 v2, v2, 2.0, -v0
	v_fma_f32 v3, v3, 2.0, -v1
	;; [unrolled: 1-line block ×4, first 2 shown]
	v_add_u32_e32 v9, 0x5000, v8
	ds_write2_b64 v9, v[2:3], v[6:7] offset0:32 offset1:248
	v_add_u32_e32 v2, 0x5e00, v8
	buffer_store_dword v2, off, s[24:27], 0 offset:140 ; 4-byte Folded Spill
	ds_write2_b64 v2, v[0:1], v[4:5] offset0:16 offset1:232
	v_mad_u64_u32 v[2:3], s[10:11], v88, 24, s[10:11]
	v_add_co_u32_e32 v0, vcc, s15, v96
	v_addc_co_u32_e32 v1, vcc, 0, v97, vcc
	buffer_store_dword v9, off, s[24:27], 0 offset:136 ; 4-byte Folded Spill
	s_waitcnt vmcnt(0) lgkmcnt(0)
	s_barrier
	global_load_dwordx4 v[92:95], v[0:1], off offset:2768
	v_add_co_u32_e32 v0, vcc, s15, v2
	v_addc_co_u32_e32 v1, vcc, 0, v3, vcc
	global_load_dwordx4 v[88:91], v[0:1], off offset:2768
	s_movk_i32 s10, 0x1ad0
	v_add_co_u32_e32 v0, vcc, s10, v96
	v_addc_co_u32_e32 v1, vcc, 0, v97, vcc
	global_load_dwordx2 v[191:192], v[0:1], off offset:16
	v_add_co_u32_e32 v0, vcc, s10, v2
	v_addc_co_u32_e32 v1, vcc, 0, v3, vcc
	global_load_dwordx2 v[189:190], v[0:1], off offset:16
	v_add_co_u32_e32 v0, vcc, s16, v2
	v_addc_co_u32_e32 v1, vcc, 0, v3, vcc
	global_load_dwordx4 v[96:99], v[0:1], off offset:2128
	v_add_co_u32_e32 v0, vcc, s17, v2
	v_addc_co_u32_e32 v1, vcc, 0, v3, vcc
	global_load_dwordx4 v[100:103], v[0:1], off offset:1488
	ds_read2_b64 v[104:107], v238 offset0:96 offset1:240
	ds_read2_b64 v[108:111], v217 offset0:64 offset1:208
	s_movk_i32 s10, 0x2850
	ds_read2_b64 v[197:200], v46 offset0:32 offset1:176
	s_waitcnt vmcnt(5) lgkmcnt(2)
	v_mul_f32_e32 v0, v105, v93
	v_fma_f32 v6, v104, v92, -v0
	v_mul_f32_e32 v7, v104, v93
	v_fmac_f32_e32 v7, v105, v92
	s_waitcnt lgkmcnt(1)
	v_mul_f32_e32 v11, v108, v95
	s_waitcnt vmcnt(4)
	v_mul_f32_e32 v0, v107, v89
	v_mul_f32_e32 v9, v106, v89
	v_fma_f32 v8, v106, v88, -v0
	v_fmac_f32_e32 v9, v107, v88
	ds_read2_b64 v[104:107], v40 offset0:32 offset1:176
	v_mul_f32_e32 v0, v109, v95
	v_fma_f32 v10, v108, v94, -v0
	v_mul_f32_e32 v0, v111, v91
	v_mul_f32_e32 v13, v110, v91
	v_fmac_f32_e32 v11, v109, v94
	v_fma_f32 v12, v110, v90, -v0
	v_fmac_f32_e32 v13, v111, v90
	s_waitcnt vmcnt(3) lgkmcnt(0)
	v_mul_f32_e32 v0, v105, v192
	ds_read2_b64 v[108:111], v237 offset1:144
	v_fma_f32 v14, v104, v191, -v0
	v_mul_f32_e32 v15, v104, v192
	s_waitcnt vmcnt(2)
	v_mul_f32_e32 v0, v107, v190
	v_mul_f32_e32 v17, v106, v190
	v_fmac_f32_e32 v15, v105, v191
	v_fma_f32 v16, v106, v189, -v0
	v_fmac_f32_e32 v17, v107, v189
	ds_read2_b64 v[104:107], v219 offset0:96 offset1:240
	s_waitcnt vmcnt(1) lgkmcnt(1)
	v_mul_f32_e32 v0, v109, v97
	v_fma_f32 v18, v108, v96, -v0
	s_waitcnt vmcnt(0)
	v_mul_f32_e32 v0, v111, v101
	v_fma_f32 v20, v110, v100, -v0
	s_waitcnt lgkmcnt(0)
	v_mul_f32_e32 v0, v105, v99
	v_fma_f32 v22, v104, v98, -v0
	v_mul_f32_e32 v0, v107, v103
	v_fma_f32 v24, v106, v102, -v0
	v_add_co_u32_e32 v0, vcc, s10, v2
	v_addc_co_u32_e32 v1, vcc, 0, v3, vcc
	s_movk_i32 s10, 0x35d0
	global_load_dwordx2 v[193:194], v[0:1], off offset:16
	v_add_co_u32_e32 v0, vcc, s10, v2
	v_addc_co_u32_e32 v1, vcc, 0, v3, vcc
	global_load_dwordx2 v[195:196], v[0:1], off offset:16
	v_mul_f32_e32 v23, v104, v99
	v_mul_f32_e32 v25, v106, v103
	v_fmac_f32_e32 v23, v105, v98
	v_fmac_f32_e32 v25, v107, v102
	ds_read2_b64 v[104:107], v234 offset0:64 offset1:208
	v_mul_f32_e32 v19, v108, v97
	v_mul_f32_e32 v21, v110, v101
	v_fmac_f32_e32 v19, v109, v96
	v_fmac_f32_e32 v21, v111, v100
	s_movk_i32 s10, 0x4350
	v_sub_f32_e32 v14, v6, v14
	v_sub_f32_e32 v15, v7, v15
	s_waitcnt vmcnt(1) lgkmcnt(0)
	v_mul_f32_e32 v0, v105, v194
	v_fma_f32 v26, v104, v193, -v0
	v_mul_f32_e32 v27, v104, v194
	v_fmac_f32_e32 v27, v105, v193
	s_waitcnt vmcnt(0)
	v_mul_f32_e32 v0, v107, v196
	v_fma_f32 v28, v106, v195, -v0
	v_add_co_u32_e32 v0, vcc, s8, v2
	v_addc_co_u32_e32 v1, vcc, 0, v3, vcc
	v_add_co_u32_e32 v4, vcc, s14, v2
	v_mul_f32_e32 v29, v106, v196
	v_addc_co_u32_e32 v5, vcc, 0, v3, vcc
	global_load_dwordx4 v[108:111], v[0:1], off offset:848
	v_fmac_f32_e32 v29, v107, v195
	global_load_dwordx4 v[104:107], v[4:5], off offset:208
	s_waitcnt vmcnt(1)
	v_mul_f32_e32 v0, v198, v109
	v_fma_f32 v30, v197, v108, -v0
	v_mul_f32_e32 v31, v197, v109
	s_waitcnt vmcnt(0)
	v_mul_f32_e32 v0, v200, v105
	v_mul_f32_e32 v33, v199, v105
	v_fmac_f32_e32 v31, v198, v108
	v_fma_f32 v32, v199, v104, -v0
	v_fmac_f32_e32 v33, v200, v104
	ds_read2_b64 v[197:200], v164 offset1:144
	s_waitcnt lgkmcnt(0)
	v_mul_f32_e32 v0, v198, v111
	v_fma_f32 v34, v197, v110, -v0
	v_mul_f32_e32 v0, v200, v107
	v_fma_f32 v36, v199, v106, -v0
	v_add_co_u32_e32 v0, vcc, s10, v2
	v_addc_co_u32_e32 v1, vcc, 0, v3, vcc
	s_movk_i32 s10, 0x50d0
	v_mul_f32_e32 v35, v197, v111
	v_mul_f32_e32 v37, v199, v107
	v_add_co_u32_e32 v2, vcc, s10, v2
	v_fmac_f32_e32 v35, v198, v110
	v_fmac_f32_e32 v37, v200, v106
	v_addc_co_u32_e32 v3, vcc, 0, v3, vcc
	global_load_dwordx2 v[199:200], v[0:1], off offset:16
	global_load_dwordx2 v[197:198], v[2:3], off offset:16
	ds_read2_b64 v[245:248], v220 offset0:96 offset1:240
	ds_read2_b64 v[250:253], v250 offset0:64 offset1:208
	s_waitcnt vmcnt(1) lgkmcnt(1)
	v_mul_f32_e32 v0, v246, v200
	v_fma_f32 v38, v245, v199, -v0
	v_mul_f32_e32 v39, v245, v200
	s_waitcnt vmcnt(0)
	v_mul_f32_e32 v0, v248, v198
	v_mul_f32_e32 v236, v247, v198
	v_fmac_f32_e32 v39, v246, v199
	v_fma_f32 v218, v247, v197, -v0
	v_fmac_f32_e32 v236, v248, v197
	ds_read2_b64 v[245:248], v204 offset1:144
	s_waitcnt lgkmcnt(0)
	v_sub_f32_e32 v2, v245, v10
	v_sub_f32_e32 v3, v246, v11
	;; [unrolled: 1-line block ×3, first 2 shown]
	v_add_f32_e32 v1, v3, v14
	v_sub_f32_e32 v10, v247, v12
	v_sub_f32_e32 v11, v248, v13
	v_fma_f32 v4, v245, 2.0, -v2
	v_fma_f32 v5, v246, 2.0, -v3
	;; [unrolled: 1-line block ×6, first 2 shown]
	ds_read2_b64 v[246:249], v208 offset0:32 offset1:176
	ds_write_b64 v204, v[2:3] offset:6912
	v_fma_f32 v2, v6, 2.0, -v14
	v_fma_f32 v3, v7, 2.0, -v15
	v_sub_f32_e32 v2, v4, v2
	v_sub_f32_e32 v3, v5, v3
	;; [unrolled: 1-line block ×4, first 2 shown]
	ds_write_b64 v204, v[2:3] offset:13824
	ds_write_b64 v204, v[0:1] offset:20736
	v_fma_f32 v0, v8, 2.0, -v6
	v_fma_f32 v1, v9, 2.0, -v7
	v_sub_f32_e32 v0, v12, v0
	v_sub_f32_e32 v1, v13, v1
	v_fma_f32 v4, v4, 2.0, -v2
	v_fma_f32 v5, v5, 2.0, -v3
	;; [unrolled: 1-line block ×4, first 2 shown]
	ds_write2_b64 v204, v[4:5], v[2:3] offset1:144
	ds_write_b64 v204, v[0:1] offset:14976
	v_sub_f32_e32 v0, v10, v7
	v_add_f32_e32 v1, v11, v6
	s_waitcnt lgkmcnt(5)
	v_sub_f32_e32 v6, v246, v22
	v_sub_f32_e32 v7, v247, v23
	;; [unrolled: 1-line block ×4, first 2 shown]
	v_fma_f32 v2, v10, 2.0, -v0
	v_fma_f32 v3, v11, 2.0, -v1
	ds_write_b64 v204, v[0:1] offset:21888
	v_sub_f32_e32 v0, v6, v9
	v_add_f32_e32 v1, v7, v8
	v_fma_f32 v4, v6, 2.0, -v0
	v_fma_f32 v5, v7, 2.0, -v1
	v_add_u32_e32 v10, 0x1e00, v204
	ds_write2_b64 v10, v[2:3], v[4:5] offset0:48 offset1:192
	v_mov_b32_e32 v43, v10
	v_sub_f32_e32 v10, v248, v24
	v_sub_f32_e32 v11, v249, v25
	;; [unrolled: 1-line block ×4, first 2 shown]
	v_fma_f32 v4, v246, 2.0, -v6
	v_fma_f32 v5, v247, 2.0, -v7
	;; [unrolled: 1-line block ×8, first 2 shown]
	v_sub_f32_e32 v2, v4, v2
	v_sub_f32_e32 v3, v5, v3
	;; [unrolled: 1-line block ×4, first 2 shown]
	v_fma_f32 v4, v4, 2.0, -v2
	v_fma_f32 v5, v5, 2.0, -v3
	;; [unrolled: 1-line block ×4, first 2 shown]
	ds_write2_b64 v208, v[4:5], v[8:9] offset0:32 offset1:176
	ds_write2_b64 v219, v[2:3], v[6:7] offset0:96 offset1:240
	v_sub_f32_e32 v2, v10, v15
	v_add_f32_e32 v3, v11, v14
	v_sub_f32_e32 v6, v250, v34
	v_sub_f32_e32 v7, v251, v35
	;; [unrolled: 1-line block ×4, first 2 shown]
	ds_write2_b64 v234, v[0:1], v[2:3] offset0:64 offset1:208
	v_fma_f32 v0, v10, 2.0, -v2
	v_fma_f32 v1, v11, 2.0, -v3
	v_sub_f32_e32 v2, v6, v9
	v_add_f32_e32 v3, v7, v8
	v_fma_f32 v4, v6, 2.0, -v2
	v_fma_f32 v5, v7, 2.0, -v3
	v_sub_f32_e32 v10, v252, v36
	v_sub_f32_e32 v11, v253, v37
	;; [unrolled: 1-line block ×4, first 2 shown]
	ds_write2_b64 v42, v[0:1], v[4:5] offset0:16 offset1:160
	v_fma_f32 v4, v250, 2.0, -v6
	v_fma_f32 v5, v251, 2.0, -v7
	;; [unrolled: 1-line block ×8, first 2 shown]
	v_sub_f32_e32 v0, v4, v0
	v_sub_f32_e32 v1, v5, v1
	v_sub_f32_e32 v6, v12, v6
	v_sub_f32_e32 v7, v13, v7
	v_fma_f32 v4, v4, 2.0, -v0
	v_fma_f32 v5, v5, 2.0, -v1
	ds_write2_b64 v164, v[0:1], v[6:7] offset1:144
	v_sub_f32_e32 v0, v10, v15
	v_add_f32_e32 v1, v11, v14
	v_fma_f32 v8, v12, 2.0, -v6
	v_fma_f32 v9, v13, 2.0, -v7
	ds_write2_b64 v220, v[2:3], v[0:1] offset0:96 offset1:240
	v_fma_f32 v0, v10, 2.0, -v0
	v_fma_f32 v1, v11, 2.0, -v1
	ds_write2_b64 v207, v[4:5], v[8:9] offset0:64 offset1:208
	ds_write_b64 v204, v[0:1] offset:12672
	s_waitcnt lgkmcnt(0)
	s_barrier
	global_load_dwordx2 v[0:1], v204, s[6:7]
	global_load_dwordx2 v[2:3], v204, s[6:7] offset:1152
	global_load_dwordx2 v[36:37], v204, s[6:7] offset:2304
	;; [unrolled: 1-line block ×3, first 2 shown]
	ds_read2_b64 v[246:249], v204 offset1:144
	v_mov_b32_e32 v30, v164
	v_mov_b32_e32 v245, v237
	;; [unrolled: 1-line block ×3, first 2 shown]
	s_waitcnt vmcnt(3) lgkmcnt(0)
	v_mul_f32_e32 v4, v247, v1
	v_mul_f32_e32 v9, v246, v1
	v_fma_f32 v8, v246, v0, -v4
	v_fmac_f32_e32 v9, v247, v0
	s_waitcnt vmcnt(2)
	v_mul_f32_e32 v0, v249, v3
	v_fma_f32 v6, v248, v2, -v0
	v_mov_b32_e32 v0, s7
	v_add_co_u32_e32 v1, vcc, s6, v204
	v_mul_f32_e32 v7, v248, v3
	v_addc_co_u32_e32 v0, vcc, 0, v0, vcc
	v_fmac_f32_e32 v7, v249, v2
	v_add_co_u32_e32 v2, vcc, s15, v1
	ds_write_b64 v204, v[8:9]
	v_addc_co_u32_e32 v3, vcc, 0, v0, vcc
	global_load_dwordx2 v[8:9], v[2:3], off offset:2816
	global_load_dwordx2 v[10:11], v[2:3], off offset:512
	ds_read2_b64 v[246:249], v207 offset0:64 offset1:208
	s_waitcnt vmcnt(0) lgkmcnt(0)
	v_mul_f32_e32 v4, v247, v11
	v_mul_f32_e32 v13, v246, v11
	v_fma_f32 v12, v246, v10, -v4
	v_fmac_f32_e32 v13, v247, v10
	global_load_dwordx2 v[10:11], v[2:3], off offset:1664
	s_waitcnt vmcnt(0)
	v_mul_f32_e32 v4, v249, v11
	v_mul_f32_e32 v15, v248, v11
	v_fma_f32 v14, v248, v10, -v4
	v_fmac_f32_e32 v15, v249, v10
	v_add_co_u32_e32 v10, vcc, s16, v1
	v_addc_co_u32_e32 v11, vcc, 0, v0, vcc
	global_load_dwordx2 v[16:17], v[10:11], off offset:1024
	global_load_dwordx2 v[18:19], v[10:11], off offset:2176
	s_nop 0
	global_load_dwordx2 v[10:11], v[10:11], off offset:3328
	s_nop 0
	global_load_dwordx2 v[4:5], v[2:3], off offset:3968
	ds_read2_b64 v[246:249], v237 offset1:144
	s_waitcnt vmcnt(3) lgkmcnt(0)
	v_mul_f32_e32 v2, v247, v17
	v_fma_f32 v20, v246, v16, -v2
	v_mul_f32_e32 v21, v246, v17
	s_waitcnt vmcnt(2)
	v_mul_f32_e32 v2, v249, v19
	v_mul_f32_e32 v17, v248, v19
	v_fmac_f32_e32 v21, v247, v16
	v_fma_f32 v16, v248, v18, -v2
	v_fmac_f32_e32 v17, v249, v18
	v_add_co_u32_e32 v18, vcc, s17, v1
	v_addc_co_u32_e32 v19, vcc, 0, v0, vcc
	global_load_dwordx2 v[22:23], v[18:19], off offset:1536
	global_load_dwordx2 v[24:25], v[18:19], off offset:2688
	;; [unrolled: 1-line block ×3, first 2 shown]
	s_nop 0
	global_load_dwordx2 v[18:19], v[18:19], off offset:384
	ds_read2_b64 v[246:249], v217 offset0:64 offset1:208
	s_waitcnt vmcnt(3) lgkmcnt(0)
	v_mul_f32_e32 v2, v247, v23
	v_fma_f32 v28, v246, v22, -v2
	v_mul_f32_e32 v29, v246, v23
	s_waitcnt vmcnt(2)
	v_mul_f32_e32 v2, v249, v25
	v_mul_f32_e32 v23, v248, v25
	v_fmac_f32_e32 v29, v247, v22
	v_fma_f32 v22, v248, v24, -v2
	v_fmac_f32_e32 v23, v249, v24
	global_load_dwordx2 v[24:25], v215, s[6:7]
	ds_read2_b64 v[246:249], v30 offset1:144
	v_mov_b32_e32 v215, v30
	s_waitcnt vmcnt(0) lgkmcnt(0)
	v_mul_f32_e32 v2, v247, v25
	v_mul_f32_e32 v31, v246, v25
	v_fma_f32 v30, v246, v24, -v2
	v_fmac_f32_e32 v31, v247, v24
	v_add_co_u32_e32 v24, vcc, s8, v1
	v_addc_co_u32_e32 v25, vcc, 0, v0, vcc
	v_add_co_u32_e32 v32, vcc, s9, v1
	v_addc_co_u32_e32 v33, vcc, 0, v0, vcc
	global_load_dwordx2 v[34:35], v[32:33], off offset:1920
	global_load_dwordx2 v[236:237], v[24:25], off offset:3200
	s_nop 0
	global_load_dwordx2 v[24:25], v[24:25], off offset:896
	s_waitcnt vmcnt(1)
	v_mul_f32_e32 v2, v249, v237
	v_mul_f32_e32 v251, v248, v237
	v_fma_f32 v250, v248, v236, -v2
	v_fmac_f32_e32 v251, v249, v236
	v_add_co_u32_e32 v236, vcc, s14, v1
	v_addc_co_u32_e32 v237, vcc, 0, v0, vcc
	global_load_dwordx2 v[252:253], v[236:237], off offset:2560
	global_load_dwordx2 v[217:218], v[236:237], off offset:3712
	global_load_dwordx2 v[0:1], v[236:237], off offset:1408
	ds_read2_b64 v[246:249], v234 offset0:64 offset1:208
	s_waitcnt vmcnt(2) lgkmcnt(0)
	v_mul_f32_e32 v2, v247, v253
	v_fma_f32 v2, v246, v252, -v2
	v_mul_f32_e32 v3, v246, v253
	s_waitcnt vmcnt(1)
	v_mul_f32_e32 v246, v249, v218
	v_mul_f32_e32 v253, v248, v218
	v_fmac_f32_e32 v3, v247, v252
	v_fma_f32 v252, v248, v217, -v246
	v_fmac_f32_e32 v253, v249, v217
	ds_read2_b64 v[246:249], v208 offset0:32 offset1:176
	s_waitcnt lgkmcnt(0)
	v_mul_f32_e32 v217, v247, v37
	v_mul_f32_e32 v218, v246, v37
	v_fma_f32 v217, v246, v36, -v217
	v_fmac_f32_e32 v218, v247, v36
	v_mul_f32_e32 v36, v249, v39
	v_mul_f32_e32 v37, v248, v39
	v_fma_f32 v36, v248, v38, -v36
	v_fmac_f32_e32 v37, v249, v38
	ds_read2_b64 v[246:249], v238 offset0:96 offset1:240
	s_waitcnt lgkmcnt(0)
	v_mul_f32_e32 v38, v247, v9
	v_mul_f32_e32 v39, v246, v9
	v_fma_f32 v38, v246, v8, -v38
	v_fmac_f32_e32 v39, v247, v8
	v_mul_f32_e32 v8, v249, v5
	v_mul_f32_e32 v9, v248, v5
	;; [unrolled: 10-line block ×4, first 2 shown]
	v_fma_f32 v26, v248, v24, -v26
	v_fmac_f32_e32 v27, v249, v24
	global_load_dwordx2 v[24:25], v[236:237], off offset:256
	ds_read2_b64 v[246:249], v40 offset0:32 offset1:176
	s_waitcnt vmcnt(0) lgkmcnt(0)
	v_mul_f32_e32 v236, v247, v25
	v_mul_f32_e32 v237, v246, v25
	v_fma_f32 v236, v246, v24, -v236
	v_fmac_f32_e32 v237, v247, v24
	v_mul_f32_e32 v24, v249, v1
	v_mul_f32_e32 v25, v248, v1
	v_fma_f32 v24, v248, v0, -v24
	v_fmac_f32_e32 v25, v249, v0
	global_load_dwordx2 v[0:1], v[32:33], off offset:768
	ds_read2_b64 v[246:249], v220 offset0:96 offset1:240
	s_waitcnt vmcnt(0) lgkmcnt(0)
	v_mul_f32_e32 v32, v247, v1
	v_mul_f32_e32 v33, v246, v1
	v_fma_f32 v32, v246, v0, -v32
	v_fmac_f32_e32 v33, v247, v0
	v_mul_f32_e32 v0, v249, v35
	v_mul_f32_e32 v1, v248, v35
	v_fma_f32 v0, v248, v34, -v0
	v_fmac_f32_e32 v1, v249, v34
	v_add_u32_e32 v34, 0x400, v204
	ds_write2_b64 v34, v[6:7], v[217:218] offset0:16 offset1:160
	v_add_u32_e32 v6, 0x1400, v204
	ds_write2_b64 v6, v[14:15], v[38:39] offset0:80 offset1:224
	;; [unrolled: 2-line block ×9, first 2 shown]
	ds_write2_b64 v42, v[16:17], v[4:5] offset0:16 offset1:160
	ds_write2_b64 v43, v[8:9], v[20:21] offset0:48 offset1:192
	ds_write_b64 v204, v[0:1] offset:26496
	s_waitcnt lgkmcnt(0)
	s_barrier
	ds_read2_b64 v[217:220], v164 offset0:64 offset1:208
	ds_read2_b64 v[246:249], v234 offset0:64 offset1:208
	;; [unrolled: 1-line block ×3, first 2 shown]
	s_waitcnt lgkmcnt(1)
	v_add_f32_e32 v1, v218, v247
	v_add_f32_e32 v0, v217, v246
	s_waitcnt lgkmcnt(0)
	v_fma_f32 v38, -0.5, v1, v251
	v_fma_f32 v36, -0.5, v0, v250
	v_sub_f32_e32 v48, v217, v246
	v_mov_b32_e32 v1, v38
	v_sub_f32_e32 v49, v218, v247
	v_mov_b32_e32 v0, v36
	v_fmac_f32_e32 v1, 0x3f5db3d7, v48
	v_fmac_f32_e32 v0, 0xbf5db3d7, v49
	v_mul_f32_e32 v39, 0xbf5db3d7, v1
	v_mul_f32_e32 v43, 0.5, v1
	v_fmac_f32_e32 v39, 0.5, v0
	v_fmac_f32_e32 v43, 0x3f5db3d7, v0
	ds_read2_b64 v[235:238], v204 offset1:144
	ds_read2_b64 v[0:3], v245 offset1:144
	;; [unrolled: 1-line block ×3, first 2 shown]
	v_fmac_f32_e32 v38, 0xbf5db3d7, v48
	v_fmac_f32_e32 v36, 0x3f5db3d7, v49
	s_waitcnt lgkmcnt(1)
	v_add_f32_e32 v8, v235, v0
	s_waitcnt lgkmcnt(0)
	v_add_f32_e32 v45, v8, v4
	v_add_f32_e32 v8, v0, v4
	v_fma_f32 v42, -0.5, v8, v235
	v_add_f32_e32 v8, v236, v1
	v_add_f32_e32 v47, v8, v5
	;; [unrolled: 1-line block ×3, first 2 shown]
	v_sub_f32_e32 v235, v1, v5
	v_add_f32_e32 v1, v1, v5
	v_add_f32_e32 v5, v250, v217
	;; [unrolled: 1-line block ×3, first 2 shown]
	ds_read2_b64 v[12:15], v208 offset0:32 offset1:176
	ds_read2_b64 v[8:11], v44 offset0:96 offset1:240
	;; [unrolled: 1-line block ×5, first 2 shown]
	v_mov_b32_e32 v218, v40
	ds_read2_b64 v[28:31], v51 offset0:96 offset1:240
	s_waitcnt lgkmcnt(0)
	s_barrier
	buffer_load_dword v40, off, s[24:27], 0 offset:112 ; 4-byte Folded Reload
	v_fma_f32 v1, -0.5, v1, v236
	v_mov_b32_e32 v37, v42
	v_sub_f32_e32 v0, v0, v4
	v_mov_b32_e32 v4, v1
	v_fmac_f32_e32 v37, 0xbf5db3d7, v235
	v_fmac_f32_e32 v4, 0x3f5db3d7, v0
	v_add_f32_e32 v5, v5, v246
	v_add_f32_e32 v32, v45, v5
	;; [unrolled: 1-line block ×5, first 2 shown]
	v_fmac_f32_e32 v1, 0xbf5db3d7, v0
	v_mul_f32_e32 v0, 0xbf5db3d7, v38
	v_fmac_f32_e32 v42, 0x3f5db3d7, v235
	v_fmac_f32_e32 v0, -0.5, v36
	v_mov_b32_e32 v250, v41
	v_mov_b32_e32 v246, v44
	;; [unrolled: 1-line block ×4, first 2 shown]
	s_waitcnt vmcnt(0)
	ds_write_b128 v40, v[32:35]
	v_sub_f32_e32 v34, v45, v5
	v_mul_f32_e32 v5, -0.5, v38
	v_fmac_f32_e32 v5, 0x3f5db3d7, v36
	v_sub_f32_e32 v35, v47, v217
	v_add_f32_e32 v32, v42, v0
	v_add_f32_e32 v33, v1, v5
	ds_write_b128 v40, v[32:35] offset:16
	v_sub_f32_e32 v33, v4, v43
	buffer_load_dword v43, off, s[24:27], 0 offset:100 ; 4-byte Folded Reload
	v_sub_f32_e32 v32, v37, v39
	v_sub_f32_e32 v34, v42, v0
	;; [unrolled: 1-line block ×3, first 2 shown]
	ds_write_b128 v40, v[32:35] offset:32
	v_add_f32_e32 v34, v220, v249
	v_add_f32_e32 v0, v237, v2
	;; [unrolled: 1-line block ×3, first 2 shown]
	v_sub_f32_e32 v32, v2, v6
	v_add_f32_e32 v2, v219, v248
	v_add_f32_e32 v33, v253, v220
	v_fmac_f32_e32 v253, -0.5, v34
	v_sub_f32_e32 v4, v3, v7
	v_add_f32_e32 v5, v238, v3
	v_add_f32_e32 v3, v3, v7
	;; [unrolled: 1-line block ×4, first 2 shown]
	v_sub_f32_e32 v35, v219, v248
	v_fma_f32 v34, -0.5, v2, v252
	v_mov_b32_e32 v2, v253
	v_add_f32_e32 v5, v5, v7
	v_sub_f32_e32 v7, v220, v249
	v_add_f32_e32 v36, v0, v248
	v_fmac_f32_e32 v238, -0.5, v3
	v_mov_b32_e32 v0, v34
	v_fmac_f32_e32 v2, 0x3f5db3d7, v35
	v_fma_f32 v39, -0.5, v1, v237
	v_fmac_f32_e32 v0, 0xbf5db3d7, v7
	v_mul_f32_e32 v37, 0xbf5db3d7, v2
	v_mul_f32_e32 v38, 0.5, v2
	v_mov_b32_e32 v40, v39
	v_mov_b32_e32 v41, v238
	v_fmac_f32_e32 v253, 0xbf5db3d7, v35
	v_add_f32_e32 v33, v33, v249
	v_fmac_f32_e32 v37, 0.5, v0
	v_fmac_f32_e32 v38, 0x3f5db3d7, v0
	v_fmac_f32_e32 v40, 0xbf5db3d7, v4
	;; [unrolled: 1-line block ×3, first 2 shown]
	v_mul_f32_e32 v35, 0xbf5db3d7, v253
	v_mul_f32_e32 v42, -0.5, v253
	v_fmac_f32_e32 v34, 0x3f5db3d7, v7
	v_add_f32_e32 v0, v6, v36
	v_add_f32_e32 v2, v40, v37
	;; [unrolled: 1-line block ×4, first 2 shown]
	v_fmac_f32_e32 v39, 0x3f5db3d7, v4
	v_fmac_f32_e32 v238, 0xbf5db3d7, v32
	v_fmac_f32_e32 v35, -0.5, v34
	v_fmac_f32_e32 v42, 0x3f5db3d7, v34
	v_sub_f32_e32 v7, v24, v28
	s_waitcnt vmcnt(0)
	ds_write_b128 v43, v[0:3]
	v_sub_f32_e32 v2, v6, v36
	v_sub_f32_e32 v3, v5, v33
	v_add_f32_e32 v0, v39, v35
	v_add_f32_e32 v1, v238, v42
	ds_write_b128 v43, v[0:3] offset:16
	v_sub_f32_e32 v3, v238, v42
	v_sub_f32_e32 v0, v40, v37
	;; [unrolled: 1-line block ×4, first 2 shown]
	ds_write_b128 v43, v[0:3] offset:32
	v_add_f32_e32 v1, v25, v29
	v_add_f32_e32 v0, v24, v28
	v_fma_f32 v6, -0.5, v1, v9
	v_fma_f32 v4, -0.5, v0, v8
	v_mov_b32_e32 v1, v6
	v_sub_f32_e32 v5, v25, v29
	v_mov_b32_e32 v0, v4
	v_fmac_f32_e32 v1, 0x3f5db3d7, v7
	v_fmac_f32_e32 v0, 0xbf5db3d7, v5
	v_mul_f32_e32 v32, 0xbf5db3d7, v1
	v_mul_f32_e32 v33, 0.5, v1
	v_fmac_f32_e32 v32, 0.5, v0
	v_fmac_f32_e32 v33, 0x3f5db3d7, v0
	v_add_f32_e32 v0, v12, v16
	v_add_f32_e32 v34, v0, v20
	v_add_f32_e32 v0, v16, v20
	v_sub_f32_e32 v16, v16, v20
	buffer_load_dword v20, off, s[24:27], 0 offset:92 ; 4-byte Folded Reload
	v_fma_f32 v12, -0.5, v0, v12
	v_add_f32_e32 v0, v13, v17
	v_add_f32_e32 v37, v0, v21
	v_add_f32_e32 v0, v17, v21
	v_fma_f32 v13, -0.5, v0, v13
	v_add_f32_e32 v0, v8, v24
	v_sub_f32_e32 v35, v17, v21
	v_mov_b32_e32 v36, v12
	v_mov_b32_e32 v17, v13
	v_add_f32_e32 v8, v0, v28
	v_add_f32_e32 v0, v9, v25
	v_fmac_f32_e32 v6, 0xbf5db3d7, v7
	v_fmac_f32_e32 v36, 0xbf5db3d7, v35
	;; [unrolled: 1-line block ×3, first 2 shown]
	v_add_f32_e32 v9, v0, v29
	v_fmac_f32_e32 v4, 0x3f5db3d7, v5
	v_mul_f32_e32 v5, 0xbf5db3d7, v6
	v_mul_f32_e32 v6, -0.5, v6
	v_add_f32_e32 v0, v34, v8
	v_add_f32_e32 v2, v36, v32
	;; [unrolled: 1-line block ×4, first 2 shown]
	v_fmac_f32_e32 v12, 0x3f5db3d7, v35
	v_fmac_f32_e32 v13, 0xbf5db3d7, v16
	v_fmac_f32_e32 v5, -0.5, v4
	v_fmac_f32_e32 v6, 0x3f5db3d7, v4
	v_sub_f32_e32 v4, v19, v23
	s_waitcnt vmcnt(0)
	ds_write_b128 v20, v[0:3]
	v_sub_f32_e32 v2, v34, v8
	v_sub_f32_e32 v3, v37, v9
	v_add_f32_e32 v0, v12, v5
	v_add_f32_e32 v1, v13, v6
	ds_write_b128 v20, v[0:3] offset:16
	v_sub_f32_e32 v0, v36, v32
	v_sub_f32_e32 v2, v12, v5
	v_sub_f32_e32 v1, v17, v33
	v_sub_f32_e32 v3, v13, v6
	ds_write_b128 v20, v[0:3] offset:32
	buffer_load_dword v20, off, s[24:27], 0 offset:96 ; 4-byte Folded Reload
	v_add_f32_e32 v2, v15, v19
	v_add_f32_e32 v12, v27, v31
	;; [unrolled: 1-line block ×6, first 2 shown]
	v_fmac_f32_e32 v11, -0.5, v12
	v_add_f32_e32 v1, v18, v22
	v_add_f32_e32 v3, v19, v23
	;; [unrolled: 1-line block ×4, first 2 shown]
	v_sub_f32_e32 v13, v26, v30
	v_fma_f32 v10, -0.5, v2, v10
	v_mov_b32_e32 v2, v11
	v_sub_f32_e32 v8, v27, v31
	v_add_f32_e32 v16, v0, v30
	v_fmac_f32_e32 v15, -0.5, v3
	v_mov_b32_e32 v0, v10
	v_fmac_f32_e32 v2, 0x3f5db3d7, v13
	v_fma_f32 v14, -0.5, v1, v14
	v_sub_f32_e32 v5, v18, v22
	v_fmac_f32_e32 v0, 0xbf5db3d7, v8
	v_mul_f32_e32 v12, 0xbf5db3d7, v2
	v_mul_f32_e32 v17, 0.5, v2
	v_mov_b32_e32 v18, v14
	v_mov_b32_e32 v19, v15
	v_fmac_f32_e32 v11, 0xbf5db3d7, v13
	v_add_f32_e32 v9, v9, v31
	v_fmac_f32_e32 v12, 0.5, v0
	v_fmac_f32_e32 v17, 0x3f5db3d7, v0
	v_fmac_f32_e32 v18, 0xbf5db3d7, v4
	;; [unrolled: 1-line block ×3, first 2 shown]
	v_mul_f32_e32 v13, 0xbf5db3d7, v11
	v_mul_f32_e32 v11, -0.5, v11
	v_fmac_f32_e32 v10, 0x3f5db3d7, v8
	v_add_f32_e32 v0, v6, v16
	v_add_f32_e32 v2, v18, v12
	;; [unrolled: 1-line block ×4, first 2 shown]
	v_fmac_f32_e32 v14, 0x3f5db3d7, v4
	v_fmac_f32_e32 v15, 0xbf5db3d7, v5
	v_fmac_f32_e32 v13, -0.5, v10
	v_fmac_f32_e32 v11, 0x3f5db3d7, v10
	s_waitcnt vmcnt(0)
	ds_write_b128 v20, v[0:3]
	v_sub_f32_e32 v2, v6, v16
	v_sub_f32_e32 v3, v7, v9
	v_add_f32_e32 v0, v14, v13
	v_add_f32_e32 v1, v15, v11
	ds_write_b128 v20, v[0:3] offset:16
	v_sub_f32_e32 v3, v15, v11
	v_sub_f32_e32 v0, v18, v12
	;; [unrolled: 1-line block ×4, first 2 shown]
	ds_write_b128 v20, v[0:3] offset:32
	s_waitcnt lgkmcnt(0)
	s_barrier
	ds_read2_b64 v[0:3], v207 offset0:64 offset1:208
	ds_read2_b64 v[4:7], v245 offset1:144
	s_waitcnt lgkmcnt(1)
	v_mul_f32_e32 v12, v137, v1
	v_fmac_f32_e32 v12, v136, v0
	v_mul_f32_e32 v0, v137, v0
	v_fma_f32 v13, v136, v1, -v0
	s_waitcnt lgkmcnt(0)
	v_mul_f32_e32 v0, v139, v4
	v_fma_f32 v11, v138, v5, -v0
	v_mul_f32_e32 v14, v133, v3
	v_mul_f32_e32 v0, v133, v2
	;; [unrolled: 1-line block ×3, first 2 shown]
	v_fmac_f32_e32 v14, v132, v2
	v_fma_f32 v15, v132, v3, -v0
	ds_read2_b64 v[0:3], v164 offset0:64 offset1:208
	v_fmac_f32_e32 v10, v138, v4
	v_mul_f32_e32 v16, v135, v7
	v_mul_f32_e32 v4, v135, v6
	v_fmac_f32_e32 v16, v134, v6
	v_fma_f32 v17, v134, v7, -v4
	ds_read2_b64 v[4:7], v215 offset1:144
	s_waitcnt lgkmcnt(1)
	v_mul_f32_e32 v18, v141, v1
	v_fmac_f32_e32 v18, v140, v0
	v_mul_f32_e32 v0, v141, v0
	v_fma_f32 v19, v140, v1, -v0
	s_waitcnt lgkmcnt(0)
	v_mul_f32_e32 v0, v143, v4
	v_fma_f32 v21, v142, v5, -v0
	v_mul_f32_e32 v22, v145, v3
	v_mul_f32_e32 v0, v145, v2
	;; [unrolled: 1-line block ×3, first 2 shown]
	v_fmac_f32_e32 v22, v144, v2
	v_fma_f32 v23, v144, v3, -v0
	ds_read2_b64 v[0:3], v44 offset0:96 offset1:240
	v_fmac_f32_e32 v20, v142, v4
	v_mul_f32_e32 v24, v147, v7
	v_mul_f32_e32 v4, v147, v6
	v_fmac_f32_e32 v24, v146, v6
	v_fma_f32 v25, v146, v7, -v4
	ds_read2_b64 v[4:7], v46 offset0:32 offset1:176
	s_waitcnt lgkmcnt(1)
	v_mul_f32_e32 v26, v129, v1
	v_fmac_f32_e32 v26, v128, v0
	v_mul_f32_e32 v0, v129, v0
	v_fma_f32 v27, v128, v1, -v0
	s_waitcnt lgkmcnt(0)
	v_mul_f32_e32 v0, v131, v4
	v_mul_f32_e32 v28, v131, v5
	v_fma_f32 v29, v130, v5, -v0
	v_mul_f32_e32 v0, v121, v3
	v_mul_f32_e32 v1, v121, v2
	v_fmac_f32_e32 v28, v130, v4
	v_fmac_f32_e32 v0, v120, v2
	v_fma_f32 v1, v120, v3, -v1
	v_mul_f32_e32 v30, v123, v7
	ds_read2_b64 v[2:5], v250 offset0:96 offset1:240
	v_fmac_f32_e32 v30, v122, v6
	v_mul_f32_e32 v6, v123, v6
	v_fma_f32 v31, v122, v7, -v6
	ds_read2_b64 v[6:9], v218 offset0:32 offset1:176
	s_waitcnt lgkmcnt(1)
	v_mul_f32_e32 v32, v117, v3
	v_fmac_f32_e32 v32, v116, v2
	v_mul_f32_e32 v2, v117, v2
	v_fma_f32 v33, v116, v3, -v2
	s_waitcnt lgkmcnt(0)
	v_mul_f32_e32 v2, v119, v6
	v_fma_f32 v35, v118, v7, -v2
	v_mul_f32_e32 v36, v125, v5
	v_mul_f32_e32 v2, v125, v4
	v_fmac_f32_e32 v36, v124, v4
	v_fma_f32 v37, v124, v5, -v2
	ds_read2_b64 v[2:5], v234 offset0:64 offset1:208
	v_mul_f32_e32 v34, v119, v7
	v_fmac_f32_e32 v34, v118, v6
	v_mul_f32_e32 v38, v127, v9
	v_mul_f32_e32 v6, v127, v8
	v_fmac_f32_e32 v38, v126, v8
	v_fma_f32 v39, v126, v9, -v6
	ds_read2_b64 v[6:9], v51 offset0:96 offset1:240
	s_waitcnt lgkmcnt(1)
	v_mul_f32_e32 v40, v202, v3
	v_fmac_f32_e32 v40, v201, v2
	v_mul_f32_e32 v2, v202, v2
	v_fma_f32 v41, v201, v3, -v2
	v_mul_f32_e32 v2, v206, v4
	v_mul_f32_e32 v42, v206, v5
	v_fma_f32 v43, v205, v5, -v2
	s_waitcnt lgkmcnt(0)
	v_mul_f32_e32 v2, v168, v6
	v_fmac_f32_e32 v42, v205, v4
	v_mul_f32_e32 v44, v168, v7
	v_fma_f32 v47, v167, v7, -v2
	ds_read2_b64 v[2:5], v204 offset1:144
	v_fmac_f32_e32 v44, v167, v6
	v_mul_f32_e32 v6, v166, v8
	v_mul_f32_e32 v116, v166, v9
	v_fma_f32 v117, v165, v9, -v6
	v_add_f32_e32 v9, v18, v40
	v_fmac_f32_e32 v116, v165, v8
	v_add_f32_e32 v8, v12, v18
	v_fmac_f32_e32 v12, -0.5, v9
	v_add_f32_e32 v9, v13, v19
	v_add_f32_e32 v120, v9, v41
	;; [unrolled: 1-line block ×3, first 2 shown]
	s_waitcnt lgkmcnt(0)
	v_add_f32_e32 v6, v3, v11
	v_add_f32_e32 v7, v2, v10
	v_fmac_f32_e32 v13, -0.5, v9
	v_add_f32_e32 v118, v6, v21
	v_sub_f32_e32 v119, v11, v21
	v_add_f32_e32 v6, v11, v21
	v_add_f32_e32 v21, v7, v20
	;; [unrolled: 1-line block ×3, first 2 shown]
	v_sub_f32_e32 v18, v18, v40
	v_mov_b32_e32 v9, v13
	v_sub_f32_e32 v121, v19, v41
	v_add_f32_e32 v19, v8, v40
	v_mov_b32_e32 v8, v12
	v_fmac_f32_e32 v9, 0x3f5db3d7, v18
	v_fma_f32 v122, -0.5, v7, v2
	v_fma_f32 v124, -0.5, v6, v3
	v_sub_f32_e32 v20, v10, v20
	v_fmac_f32_e32 v8, 0xbf5db3d7, v121
	v_mul_f32_e32 v40, 0xbf5db3d7, v9
	v_mul_f32_e32 v41, 0.5, v9
	v_mov_b32_e32 v123, v122
	v_mov_b32_e32 v125, v124
	v_fmac_f32_e32 v13, 0xbf5db3d7, v18
	v_fmac_f32_e32 v40, 0.5, v8
	v_fmac_f32_e32 v41, 0x3f5db3d7, v8
	v_fmac_f32_e32 v123, 0xbf5db3d7, v119
	;; [unrolled: 1-line block ×4, first 2 shown]
	v_mul_f32_e32 v18, 0xbf5db3d7, v13
	v_mul_f32_e32 v13, -0.5, v13
	v_add_f32_e32 v2, v21, v19
	v_add_f32_e32 v3, v118, v120
	;; [unrolled: 1-line block ×4, first 2 shown]
	v_fmac_f32_e32 v122, 0x3f5db3d7, v119
	v_fmac_f32_e32 v124, 0xbf5db3d7, v20
	v_fmac_f32_e32 v18, -0.5, v12
	v_fmac_f32_e32 v13, 0x3f5db3d7, v12
	ds_read2_b64 v[6:9], v208 offset0:32 offset1:176
	s_waitcnt lgkmcnt(0)
	s_barrier
	ds_write2_b64 v216, v[2:3], v[10:11] offset1:6
	v_sub_f32_e32 v2, v21, v19
	v_sub_f32_e32 v3, v118, v120
	v_add_f32_e32 v10, v122, v18
	v_add_f32_e32 v11, v124, v13
	ds_write2_b64 v216, v[10:11], v[2:3] offset0:12 offset1:18
	v_sub_f32_e32 v2, v123, v40
	buffer_load_dword v40, off, s[24:27], 0 offset:104 ; 4-byte Folded Reload
	v_sub_f32_e32 v3, v125, v41
	v_sub_f32_e32 v10, v122, v18
	;; [unrolled: 1-line block ×3, first 2 shown]
	ds_write2_b64 v216, v[2:3], v[10:11] offset0:24 offset1:30
	v_add_f32_e32 v10, v22, v42
	v_add_f32_e32 v2, v5, v17
	;; [unrolled: 1-line block ×3, first 2 shown]
	v_fmac_f32_e32 v14, -0.5, v10
	v_add_f32_e32 v10, v15, v23
	v_add_f32_e32 v12, v2, v25
	;; [unrolled: 1-line block ×5, first 2 shown]
	v_fmac_f32_e32 v5, -0.5, v2
	v_add_f32_e32 v2, v4, v16
	v_fmac_f32_e32 v15, -0.5, v10
	v_sub_f32_e32 v13, v17, v25
	v_add_f32_e32 v17, v2, v24
	v_add_f32_e32 v2, v16, v24
	v_sub_f32_e32 v21, v22, v42
	v_mov_b32_e32 v10, v15
	v_sub_f32_e32 v19, v23, v43
	v_add_f32_e32 v20, v3, v42
	v_mov_b32_e32 v3, v14
	v_fmac_f32_e32 v10, 0x3f5db3d7, v21
	v_fma_f32 v4, -0.5, v2, v4
	v_sub_f32_e32 v16, v16, v24
	v_fmac_f32_e32 v3, 0xbf5db3d7, v19
	v_mul_f32_e32 v22, 0xbf5db3d7, v10
	v_mul_f32_e32 v23, 0.5, v10
	v_mov_b32_e32 v24, v4
	v_mov_b32_e32 v25, v5
	v_fmac_f32_e32 v22, 0.5, v3
	v_fmac_f32_e32 v23, 0x3f5db3d7, v3
	v_fmac_f32_e32 v24, 0xbf5db3d7, v13
	v_fmac_f32_e32 v25, 0x3f5db3d7, v16
	v_add_f32_e32 v2, v17, v20
	v_add_f32_e32 v3, v12, v18
	;; [unrolled: 1-line block ×4, first 2 shown]
	v_fmac_f32_e32 v15, 0xbf5db3d7, v21
	v_fmac_f32_e32 v4, 0x3f5db3d7, v13
	;; [unrolled: 1-line block ×3, first 2 shown]
	v_mul_f32_e32 v13, -0.5, v15
	v_fmac_f32_e32 v5, 0xbf5db3d7, v16
	v_fmac_f32_e32 v13, 0x3f5db3d7, v14
	s_waitcnt vmcnt(0)
	ds_write2_b64 v40, v[2:3], v[10:11] offset1:6
	v_sub_f32_e32 v3, v12, v18
	v_mul_f32_e32 v12, 0xbf5db3d7, v15
	v_fmac_f32_e32 v12, -0.5, v14
	v_sub_f32_e32 v2, v17, v20
	v_add_f32_e32 v10, v4, v12
	v_add_f32_e32 v11, v5, v13
	ds_write2_b64 v40, v[10:11], v[2:3] offset0:12 offset1:18
	v_sub_f32_e32 v3, v5, v13
	v_sub_f32_e32 v2, v4, v12
	;; [unrolled: 1-line block ×4, first 2 shown]
	ds_write2_b64 v40, v[4:5], v[2:3] offset0:24 offset1:30
	v_add_f32_e32 v5, v32, v44
	v_add_f32_e32 v4, v26, v32
	v_fmac_f32_e32 v26, -0.5, v5
	v_add_f32_e32 v5, v27, v33
	v_add_f32_e32 v14, v5, v47
	;; [unrolled: 1-line block ×5, first 2 shown]
	v_fmac_f32_e32 v27, -0.5, v5
	v_add_f32_e32 v10, v2, v35
	v_add_f32_e32 v2, v29, v35
	;; [unrolled: 1-line block ×4, first 2 shown]
	v_sub_f32_e32 v17, v32, v44
	v_mov_b32_e32 v5, v27
	v_sub_f32_e32 v15, v33, v47
	v_add_f32_e32 v16, v4, v44
	v_mov_b32_e32 v4, v26
	v_fmac_f32_e32 v5, 0x3f5db3d7, v17
	v_fma_f32 v6, -0.5, v3, v6
	v_fma_f32 v7, -0.5, v2, v7
	v_sub_f32_e32 v11, v29, v35
	v_sub_f32_e32 v13, v28, v34
	v_fmac_f32_e32 v4, 0xbf5db3d7, v15
	v_mul_f32_e32 v18, 0xbf5db3d7, v5
	v_mul_f32_e32 v19, 0.5, v5
	v_mov_b32_e32 v20, v6
	v_mov_b32_e32 v21, v7
	v_fmac_f32_e32 v18, 0.5, v4
	v_fmac_f32_e32 v19, 0x3f5db3d7, v4
	v_fmac_f32_e32 v20, 0xbf5db3d7, v11
	;; [unrolled: 1-line block ×3, first 2 shown]
	v_add_f32_e32 v2, v12, v16
	v_add_f32_e32 v3, v10, v14
	;; [unrolled: 1-line block ×4, first 2 shown]
	v_fmac_f32_e32 v27, 0xbf5db3d7, v17
	ds_write2_b64 v50, v[2:3], v[4:5] offset1:6
	v_sub_f32_e32 v3, v10, v14
	v_fmac_f32_e32 v6, 0x3f5db3d7, v11
	v_fmac_f32_e32 v26, 0x3f5db3d7, v15
	v_mul_f32_e32 v10, 0xbf5db3d7, v27
	v_mul_f32_e32 v11, -0.5, v27
	v_fmac_f32_e32 v7, 0xbf5db3d7, v13
	v_fmac_f32_e32 v10, -0.5, v26
	v_fmac_f32_e32 v11, 0x3f5db3d7, v26
	v_sub_f32_e32 v2, v12, v16
	v_add_f32_e32 v4, v6, v10
	v_add_f32_e32 v5, v7, v11
	ds_write2_b64 v50, v[4:5], v[2:3] offset0:12 offset1:18
	v_sub_f32_e32 v2, v20, v18
	buffer_load_dword v20, off, s[24:27], 0 offset:108 ; 4-byte Folded Reload
	v_sub_f32_e32 v3, v21, v19
	v_sub_f32_e32 v4, v6, v10
	;; [unrolled: 1-line block ×3, first 2 shown]
	ds_write2_b64 v50, v[2:3], v[4:5] offset0:24 offset1:30
	v_add_f32_e32 v4, v36, v116
	v_add_f32_e32 v2, v9, v31
	;; [unrolled: 1-line block ×3, first 2 shown]
	v_fmac_f32_e32 v0, -0.5, v4
	v_add_f32_e32 v4, v1, v37
	v_add_f32_e32 v6, v2, v39
	;; [unrolled: 1-line block ×5, first 2 shown]
	v_fmac_f32_e32 v9, -0.5, v2
	v_add_f32_e32 v2, v8, v30
	v_fmac_f32_e32 v1, -0.5, v4
	v_add_f32_e32 v10, v2, v38
	v_add_f32_e32 v2, v30, v38
	v_sub_f32_e32 v15, v36, v116
	v_mov_b32_e32 v4, v1
	v_sub_f32_e32 v13, v37, v117
	v_add_f32_e32 v14, v3, v116
	v_mov_b32_e32 v3, v0
	v_fmac_f32_e32 v4, 0x3f5db3d7, v15
	v_fma_f32 v8, -0.5, v2, v8
	v_sub_f32_e32 v7, v31, v39
	v_sub_f32_e32 v11, v30, v38
	v_fmac_f32_e32 v3, 0xbf5db3d7, v13
	v_mul_f32_e32 v16, 0xbf5db3d7, v4
	v_mul_f32_e32 v17, 0.5, v4
	v_mov_b32_e32 v18, v8
	v_mov_b32_e32 v19, v9
	v_fmac_f32_e32 v16, 0.5, v3
	v_fmac_f32_e32 v17, 0x3f5db3d7, v3
	v_fmac_f32_e32 v18, 0xbf5db3d7, v7
	;; [unrolled: 1-line block ×3, first 2 shown]
	v_add_f32_e32 v2, v10, v14
	v_add_f32_e32 v3, v6, v12
	;; [unrolled: 1-line block ×4, first 2 shown]
	v_fmac_f32_e32 v1, 0xbf5db3d7, v15
	v_fmac_f32_e32 v0, 0x3f5db3d7, v13
	;; [unrolled: 1-line block ×4, first 2 shown]
	s_waitcnt vmcnt(0)
	ds_write2_b64 v20, v[2:3], v[4:5] offset1:6
	v_mul_f32_e32 v4, 0xbf5db3d7, v1
	v_mul_f32_e32 v5, -0.5, v1
	v_fmac_f32_e32 v4, -0.5, v0
	v_fmac_f32_e32 v5, 0x3f5db3d7, v0
	v_sub_f32_e32 v2, v10, v14
	v_sub_f32_e32 v3, v6, v12
	v_add_f32_e32 v0, v8, v4
	v_add_f32_e32 v1, v9, v5
	ds_write2_b64 v20, v[0:1], v[2:3] offset0:12 offset1:18
	v_sub_f32_e32 v1, v9, v5
	v_sub_f32_e32 v0, v8, v4
	;; [unrolled: 1-line block ×4, first 2 shown]
	ds_write2_b64 v20, v[2:3], v[0:1] offset0:24 offset1:30
	s_waitcnt lgkmcnt(0)
	s_barrier
	ds_read2_b64 v[0:3], v207 offset0:64 offset1:208
	ds_read2_b64 v[4:7], v245 offset1:144
	s_waitcnt lgkmcnt(1)
	v_mul_f32_e32 v12, v113, v1
	v_fmac_f32_e32 v12, v112, v0
	v_mul_f32_e32 v0, v113, v0
	v_fma_f32 v13, v112, v1, -v0
	s_waitcnt lgkmcnt(0)
	v_mul_f32_e32 v0, v115, v4
	v_fma_f32 v11, v114, v5, -v0
	v_mul_f32_e32 v14, v149, v3
	v_mul_f32_e32 v0, v149, v2
	;; [unrolled: 1-line block ×3, first 2 shown]
	v_fmac_f32_e32 v14, v148, v2
	v_fma_f32 v15, v148, v3, -v0
	ds_read2_b64 v[0:3], v164 offset0:64 offset1:208
	v_fmac_f32_e32 v10, v114, v4
	v_mul_f32_e32 v16, v151, v7
	v_mul_f32_e32 v4, v151, v6
	v_fmac_f32_e32 v16, v150, v6
	v_fma_f32 v17, v150, v7, -v4
	ds_read2_b64 v[4:7], v215 offset1:144
	s_waitcnt lgkmcnt(1)
	v_mul_f32_e32 v18, v153, v1
	v_fmac_f32_e32 v18, v152, v0
	v_mul_f32_e32 v0, v153, v0
	v_fma_f32 v19, v152, v1, -v0
	s_waitcnt lgkmcnt(0)
	v_mul_f32_e32 v0, v155, v4
	v_fma_f32 v21, v154, v5, -v0
	v_mul_f32_e32 v22, v170, v3
	v_mul_f32_e32 v0, v170, v2
	;; [unrolled: 1-line block ×3, first 2 shown]
	v_fmac_f32_e32 v22, v169, v2
	v_fma_f32 v23, v169, v3, -v0
	ds_read2_b64 v[0:3], v246 offset0:96 offset1:240
	v_fmac_f32_e32 v20, v154, v4
	v_mul_f32_e32 v24, v172, v7
	v_mul_f32_e32 v4, v172, v6
	v_fmac_f32_e32 v24, v171, v6
	v_fma_f32 v25, v171, v7, -v4
	ds_read2_b64 v[4:7], v46 offset0:32 offset1:176
	s_waitcnt lgkmcnt(1)
	v_mul_f32_e32 v26, v157, v1
	v_fmac_f32_e32 v26, v156, v0
	v_mul_f32_e32 v0, v157, v0
	v_fma_f32 v27, v156, v1, -v0
	s_waitcnt lgkmcnt(0)
	v_mul_f32_e32 v0, v159, v4
	v_mul_f32_e32 v28, v159, v5
	v_fma_f32 v29, v158, v5, -v0
	v_mul_f32_e32 v0, v57, v3
	v_mul_f32_e32 v1, v57, v2
	v_fmac_f32_e32 v28, v158, v4
	v_fmac_f32_e32 v0, v56, v2
	v_fma_f32 v1, v56, v3, -v1
	v_mul_f32_e32 v30, v59, v7
	ds_read2_b64 v[2:5], v250 offset0:96 offset1:240
	v_fmac_f32_e32 v30, v58, v6
	v_mul_f32_e32 v6, v59, v6
	v_fma_f32 v31, v58, v7, -v6
	ds_read2_b64 v[6:9], v218 offset0:32 offset1:176
	s_waitcnt lgkmcnt(1)
	v_mul_f32_e32 v32, v61, v3
	v_fmac_f32_e32 v32, v60, v2
	v_mul_f32_e32 v2, v61, v2
	v_fma_f32 v33, v60, v3, -v2
	s_waitcnt lgkmcnt(0)
	v_mul_f32_e32 v2, v63, v6
	v_fma_f32 v35, v62, v7, -v2
	v_mul_f32_e32 v36, v53, v5
	v_mul_f32_e32 v2, v53, v4
	;; [unrolled: 1-line block ×3, first 2 shown]
	v_fmac_f32_e32 v36, v52, v4
	v_fma_f32 v37, v52, v5, -v2
	ds_read2_b64 v[2:5], v234 offset0:64 offset1:208
	v_fmac_f32_e32 v34, v62, v6
	v_mul_f32_e32 v38, v55, v9
	v_mul_f32_e32 v6, v55, v8
	v_fmac_f32_e32 v38, v54, v8
	v_fma_f32 v39, v54, v9, -v6
	ds_read2_b64 v[6:9], v51 offset0:96 offset1:240
	s_waitcnt lgkmcnt(1)
	v_mul_f32_e32 v40, v161, v3
	v_fmac_f32_e32 v40, v160, v2
	v_mul_f32_e32 v2, v161, v2
	v_fma_f32 v41, v160, v3, -v2
	v_mul_f32_e32 v2, v163, v4
	s_waitcnt lgkmcnt(0)
	v_mul_f32_e32 v44, v176, v7
	v_mul_f32_e32 v42, v163, v5
	v_fma_f32 v43, v162, v5, -v2
	v_fmac_f32_e32 v44, v175, v6
	v_mul_f32_e32 v2, v176, v6
	v_mul_f32_e32 v6, v174, v8
	v_fmac_f32_e32 v42, v162, v4
	v_fma_f32 v45, v175, v7, -v2
	ds_read2_b64 v[2:5], v204 offset1:144
	v_mul_f32_e32 v46, v174, v9
	v_fma_f32 v47, v173, v9, -v6
	v_add_f32_e32 v9, v18, v40
	v_fmac_f32_e32 v46, v173, v8
	v_add_f32_e32 v8, v12, v18
	v_fmac_f32_e32 v12, -0.5, v9
	v_add_f32_e32 v9, v13, v19
	v_add_f32_e32 v50, v9, v41
	;; [unrolled: 1-line block ×3, first 2 shown]
	v_fmac_f32_e32 v13, -0.5, v9
	v_sub_f32_e32 v18, v18, v40
	v_mov_b32_e32 v9, v13
	s_waitcnt lgkmcnt(0)
	v_add_f32_e32 v6, v3, v11
	v_add_f32_e32 v7, v2, v10
	v_sub_f32_e32 v51, v19, v41
	v_add_f32_e32 v19, v8, v40
	v_mov_b32_e32 v8, v12
	v_fmac_f32_e32 v9, 0x3f5db3d7, v18
	v_add_f32_e32 v48, v6, v21
	v_sub_f32_e32 v49, v11, v21
	v_add_f32_e32 v6, v11, v21
	v_add_f32_e32 v21, v7, v20
	;; [unrolled: 1-line block ×3, first 2 shown]
	v_fmac_f32_e32 v8, 0xbf5db3d7, v51
	v_mul_f32_e32 v40, 0xbf5db3d7, v9
	v_mul_f32_e32 v41, 0.5, v9
	v_fmac_f32_e32 v40, 0.5, v8
	v_fmac_f32_e32 v41, 0x3f5db3d7, v8
	v_fma_f32 v52, -0.5, v7, v2
	v_fma_f32 v54, -0.5, v6, v3
	ds_read2_b64 v[6:9], v208 offset0:32 offset1:176
	s_waitcnt lgkmcnt(0)
	s_barrier
	buffer_load_dword v56, off, s[24:27], 0 offset:116 ; 4-byte Folded Reload
	v_sub_f32_e32 v20, v10, v20
	v_mov_b32_e32 v53, v52
	v_mov_b32_e32 v55, v54
	v_fmac_f32_e32 v13, 0xbf5db3d7, v18
	v_fmac_f32_e32 v53, 0xbf5db3d7, v49
	;; [unrolled: 1-line block ×4, first 2 shown]
	v_mul_f32_e32 v18, 0xbf5db3d7, v13
	v_mul_f32_e32 v13, -0.5, v13
	v_add_f32_e32 v2, v21, v19
	v_add_f32_e32 v3, v48, v50
	;; [unrolled: 1-line block ×4, first 2 shown]
	v_fmac_f32_e32 v52, 0x3f5db3d7, v49
	v_fmac_f32_e32 v54, 0xbf5db3d7, v20
	v_fmac_f32_e32 v18, -0.5, v12
	v_fmac_f32_e32 v13, 0x3f5db3d7, v12
	s_waitcnt vmcnt(0)
	ds_write2_b64 v56, v[2:3], v[10:11] offset1:36
	v_sub_f32_e32 v2, v21, v19
	v_sub_f32_e32 v3, v48, v50
	v_add_f32_e32 v10, v52, v18
	v_add_f32_e32 v11, v54, v13
	ds_write2_b64 v56, v[10:11], v[2:3] offset0:72 offset1:108
	v_sub_f32_e32 v2, v53, v40
	buffer_load_dword v40, off, s[24:27], 0 offset:120 ; 4-byte Folded Reload
	v_sub_f32_e32 v3, v55, v41
	v_sub_f32_e32 v10, v52, v18
	;; [unrolled: 1-line block ×3, first 2 shown]
	ds_write2_b64 v56, v[2:3], v[10:11] offset0:144 offset1:180
	v_add_f32_e32 v10, v22, v42
	v_add_f32_e32 v2, v5, v17
	;; [unrolled: 1-line block ×3, first 2 shown]
	v_fmac_f32_e32 v14, -0.5, v10
	v_add_f32_e32 v10, v15, v23
	v_add_f32_e32 v12, v2, v25
	;; [unrolled: 1-line block ×5, first 2 shown]
	v_fmac_f32_e32 v5, -0.5, v2
	v_add_f32_e32 v2, v4, v16
	v_fmac_f32_e32 v15, -0.5, v10
	v_sub_f32_e32 v13, v17, v25
	v_add_f32_e32 v17, v2, v24
	v_add_f32_e32 v2, v16, v24
	v_sub_f32_e32 v21, v22, v42
	v_mov_b32_e32 v10, v15
	v_sub_f32_e32 v19, v23, v43
	v_add_f32_e32 v20, v3, v42
	v_mov_b32_e32 v3, v14
	v_fmac_f32_e32 v10, 0x3f5db3d7, v21
	v_fma_f32 v4, -0.5, v2, v4
	v_sub_f32_e32 v16, v16, v24
	v_fmac_f32_e32 v3, 0xbf5db3d7, v19
	v_mul_f32_e32 v22, 0xbf5db3d7, v10
	v_mul_f32_e32 v23, 0.5, v10
	v_mov_b32_e32 v24, v4
	v_mov_b32_e32 v25, v5
	v_fmac_f32_e32 v22, 0.5, v3
	v_fmac_f32_e32 v23, 0x3f5db3d7, v3
	v_fmac_f32_e32 v24, 0xbf5db3d7, v13
	;; [unrolled: 1-line block ×3, first 2 shown]
	v_add_f32_e32 v2, v17, v20
	v_add_f32_e32 v3, v12, v18
	;; [unrolled: 1-line block ×4, first 2 shown]
	v_fmac_f32_e32 v15, 0xbf5db3d7, v21
	v_fmac_f32_e32 v4, 0x3f5db3d7, v13
	;; [unrolled: 1-line block ×3, first 2 shown]
	v_mul_f32_e32 v13, -0.5, v15
	v_fmac_f32_e32 v5, 0xbf5db3d7, v16
	v_fmac_f32_e32 v13, 0x3f5db3d7, v14
	s_waitcnt vmcnt(0)
	ds_write2_b64 v40, v[2:3], v[10:11] offset1:36
	v_sub_f32_e32 v3, v12, v18
	v_mul_f32_e32 v12, 0xbf5db3d7, v15
	v_fmac_f32_e32 v12, -0.5, v14
	v_sub_f32_e32 v2, v17, v20
	v_add_f32_e32 v10, v4, v12
	v_add_f32_e32 v11, v5, v13
	ds_write2_b64 v40, v[10:11], v[2:3] offset0:72 offset1:108
	v_sub_f32_e32 v2, v4, v12
	v_sub_f32_e32 v4, v24, v22
	buffer_load_dword v22, off, s[24:27], 0 offset:124 ; 4-byte Folded Reload
	v_sub_f32_e32 v3, v5, v13
	v_sub_f32_e32 v5, v25, v23
	ds_write2_b64 v40, v[4:5], v[2:3] offset0:144 offset1:180
	v_add_f32_e32 v5, v32, v44
	v_add_f32_e32 v4, v26, v32
	v_fmac_f32_e32 v26, -0.5, v5
	v_add_f32_e32 v5, v27, v33
	v_add_f32_e32 v14, v5, v45
	;; [unrolled: 1-line block ×5, first 2 shown]
	v_fmac_f32_e32 v27, -0.5, v5
	v_add_f32_e32 v10, v2, v35
	v_add_f32_e32 v2, v29, v35
	;; [unrolled: 1-line block ×4, first 2 shown]
	v_sub_f32_e32 v17, v32, v44
	v_mov_b32_e32 v5, v27
	v_sub_f32_e32 v15, v33, v45
	v_add_f32_e32 v16, v4, v44
	v_mov_b32_e32 v4, v26
	v_fmac_f32_e32 v5, 0x3f5db3d7, v17
	v_fma_f32 v6, -0.5, v3, v6
	v_fma_f32 v7, -0.5, v2, v7
	v_sub_f32_e32 v11, v29, v35
	v_sub_f32_e32 v13, v28, v34
	v_fmac_f32_e32 v4, 0xbf5db3d7, v15
	v_mul_f32_e32 v18, 0xbf5db3d7, v5
	v_mul_f32_e32 v19, 0.5, v5
	v_mov_b32_e32 v20, v6
	v_mov_b32_e32 v21, v7
	v_fmac_f32_e32 v18, 0.5, v4
	v_fmac_f32_e32 v19, 0x3f5db3d7, v4
	v_fmac_f32_e32 v20, 0xbf5db3d7, v11
	;; [unrolled: 1-line block ×3, first 2 shown]
	v_add_f32_e32 v2, v12, v16
	v_add_f32_e32 v3, v10, v14
	;; [unrolled: 1-line block ×4, first 2 shown]
	v_fmac_f32_e32 v27, 0xbf5db3d7, v17
	v_fmac_f32_e32 v6, 0x3f5db3d7, v11
	;; [unrolled: 1-line block ×3, first 2 shown]
	v_mul_f32_e32 v11, -0.5, v27
	v_fmac_f32_e32 v7, 0xbf5db3d7, v13
	v_fmac_f32_e32 v11, 0x3f5db3d7, v26
	v_sub_f32_e32 v15, v36, v46
	v_sub_f32_e32 v13, v37, v47
	s_waitcnt vmcnt(0)
	ds_write2_b64 v22, v[2:3], v[4:5] offset1:36
	v_sub_f32_e32 v3, v10, v14
	v_mul_f32_e32 v10, 0xbf5db3d7, v27
	v_fmac_f32_e32 v10, -0.5, v26
	v_sub_f32_e32 v2, v12, v16
	v_add_f32_e32 v4, v6, v10
	v_add_f32_e32 v5, v7, v11
	ds_write2_b64 v22, v[4:5], v[2:3] offset0:72 offset1:108
	v_sub_f32_e32 v2, v20, v18
	buffer_load_dword v20, off, s[24:27], 0 offset:128 ; 4-byte Folded Reload
	v_sub_f32_e32 v3, v21, v19
	v_sub_f32_e32 v4, v6, v10
	;; [unrolled: 1-line block ×3, first 2 shown]
	ds_write2_b64 v22, v[2:3], v[4:5] offset0:144 offset1:180
	v_add_f32_e32 v4, v36, v46
	v_add_f32_e32 v2, v9, v31
	;; [unrolled: 1-line block ×3, first 2 shown]
	v_fmac_f32_e32 v0, -0.5, v4
	v_add_f32_e32 v4, v1, v37
	v_add_f32_e32 v6, v2, v39
	;; [unrolled: 1-line block ×5, first 2 shown]
	v_fmac_f32_e32 v9, -0.5, v2
	v_add_f32_e32 v2, v8, v30
	v_fmac_f32_e32 v1, -0.5, v4
	v_add_f32_e32 v10, v2, v38
	v_add_f32_e32 v2, v30, v38
	v_mov_b32_e32 v4, v1
	v_add_f32_e32 v14, v3, v46
	v_mov_b32_e32 v3, v0
	v_fmac_f32_e32 v4, 0x3f5db3d7, v15
	v_fma_f32 v8, -0.5, v2, v8
	v_sub_f32_e32 v7, v31, v39
	v_sub_f32_e32 v11, v30, v38
	v_fmac_f32_e32 v3, 0xbf5db3d7, v13
	v_mul_f32_e32 v16, 0xbf5db3d7, v4
	v_mul_f32_e32 v17, 0.5, v4
	v_mov_b32_e32 v18, v8
	v_mov_b32_e32 v19, v9
	v_fmac_f32_e32 v16, 0.5, v3
	v_fmac_f32_e32 v17, 0x3f5db3d7, v3
	v_fmac_f32_e32 v18, 0xbf5db3d7, v7
	;; [unrolled: 1-line block ×3, first 2 shown]
	v_add_f32_e32 v2, v10, v14
	v_add_f32_e32 v3, v6, v12
	;; [unrolled: 1-line block ×4, first 2 shown]
	v_fmac_f32_e32 v1, 0xbf5db3d7, v15
	v_fmac_f32_e32 v0, 0x3f5db3d7, v13
	;; [unrolled: 1-line block ×4, first 2 shown]
	s_waitcnt vmcnt(0)
	ds_write2_b64 v20, v[2:3], v[4:5] offset1:36
	v_mul_f32_e32 v4, 0xbf5db3d7, v1
	v_mul_f32_e32 v5, -0.5, v1
	v_fmac_f32_e32 v4, -0.5, v0
	v_fmac_f32_e32 v5, 0x3f5db3d7, v0
	v_sub_f32_e32 v2, v10, v14
	v_sub_f32_e32 v3, v6, v12
	v_add_f32_e32 v0, v8, v4
	v_add_f32_e32 v1, v9, v5
	ds_write2_b64 v20, v[0:1], v[2:3] offset0:72 offset1:108
	v_sub_f32_e32 v1, v9, v5
	v_sub_f32_e32 v0, v8, v4
	;; [unrolled: 1-line block ×4, first 2 shown]
	ds_write2_b64 v20, v[2:3], v[0:1] offset0:144 offset1:180
	s_waitcnt lgkmcnt(0)
	s_barrier
	ds_read2_b64 v[0:3], v246 offset0:96 offset1:240
	ds_read2_b64 v[4:7], v164 offset0:64 offset1:208
	s_waitcnt lgkmcnt(1)
	v_mul_f32_e32 v8, v69, v1
	v_fmac_f32_e32 v8, v68, v0
	v_mul_f32_e32 v0, v69, v0
	v_fma_f32 v9, v68, v1, -v0
	s_waitcnt lgkmcnt(0)
	v_mul_f32_e32 v0, v71, v4
	v_fma_f32 v11, v70, v5, -v0
	v_mul_f32_e32 v18, v65, v3
	v_mul_f32_e32 v0, v65, v2
	;; [unrolled: 1-line block ×3, first 2 shown]
	v_fmac_f32_e32 v18, v64, v2
	v_fma_f32 v19, v64, v3, -v0
	ds_read2_b64 v[0:3], v245 offset1:144
	v_fmac_f32_e32 v10, v70, v4
	v_mul_f32_e32 v20, v67, v7
	v_mul_f32_e32 v4, v67, v6
	v_fmac_f32_e32 v20, v66, v6
	v_fma_f32 v21, v66, v7, -v4
	ds_read2_b64 v[4:7], v250 offset0:96 offset1:240
	s_waitcnt lgkmcnt(1)
	v_mul_f32_e32 v22, v77, v1
	v_fmac_f32_e32 v22, v76, v0
	v_mul_f32_e32 v0, v77, v0
	v_fma_f32 v23, v76, v1, -v0
	s_waitcnt lgkmcnt(0)
	v_mul_f32_e32 v0, v79, v4
	v_fma_f32 v25, v78, v5, -v0
	v_mul_f32_e32 v26, v73, v3
	v_mul_f32_e32 v0, v73, v2
	;; [unrolled: 1-line block ×3, first 2 shown]
	v_fmac_f32_e32 v26, v72, v2
	v_fma_f32 v27, v72, v3, -v0
	ds_read2_b64 v[0:3], v236 offset0:32 offset1:176
	v_fmac_f32_e32 v24, v78, v4
	v_mul_f32_e32 v28, v75, v7
	v_mul_f32_e32 v4, v75, v6
	v_fmac_f32_e32 v28, v74, v6
	v_fma_f32 v29, v74, v7, -v4
	ds_read2_b64 v[4:7], v215 offset1:144
	s_waitcnt lgkmcnt(1)
	v_mul_f32_e32 v30, v85, v1
	v_fmac_f32_e32 v30, v84, v0
	v_mul_f32_e32 v0, v85, v0
	v_fma_f32 v31, v84, v1, -v0
	s_waitcnt lgkmcnt(0)
	v_mul_f32_e32 v0, v87, v4
	v_fma_f32 v33, v86, v5, -v0
	v_mul_f32_e32 v34, v81, v3
	v_mul_f32_e32 v0, v81, v2
	v_fmac_f32_e32 v34, v80, v2
	v_fma_f32 v35, v80, v3, -v0
	ds_read2_b64 v[0:3], v218 offset0:32 offset1:176
	v_mul_f32_e32 v32, v87, v5
	v_fmac_f32_e32 v32, v86, v4
	v_mul_f32_e32 v36, v83, v7
	v_mul_f32_e32 v4, v83, v6
	v_fmac_f32_e32 v36, v82, v6
	v_fma_f32 v37, v82, v7, -v4
	ds_read2_b64 v[4:7], v234 offset0:64 offset1:208
	s_waitcnt lgkmcnt(1)
	v_mul_f32_e32 v12, v180, v1
	v_fmac_f32_e32 v12, v179, v0
	v_mul_f32_e32 v0, v180, v0
	v_fma_f32 v13, v179, v1, -v0
	v_mul_f32_e32 v0, v178, v2
	v_mul_f32_e32 v38, v178, v3
	v_fma_f32 v39, v177, v3, -v0
	s_waitcnt lgkmcnt(0)
	v_mul_f32_e32 v0, v184, v4
	v_fmac_f32_e32 v38, v177, v2
	v_fma_f32 v41, v183, v5, -v0
	ds_read2_b64 v[0:3], v247 offset0:96 offset1:240
	v_mul_f32_e32 v40, v184, v5
	v_fmac_f32_e32 v40, v183, v4
	v_mul_f32_e32 v42, v182, v7
	v_mul_f32_e32 v4, v182, v6
	v_fmac_f32_e32 v42, v181, v6
	v_fma_f32 v43, v181, v7, -v4
	ds_read2_b64 v[4:7], v204 offset1:144
	s_waitcnt lgkmcnt(1)
	v_mul_f32_e32 v44, v188, v1
	v_fmac_f32_e32 v44, v187, v0
	v_mul_f32_e32 v0, v188, v0
	v_fma_f32 v45, v187, v1, -v0
	v_mul_f32_e32 v46, v186, v3
	v_mul_f32_e32 v0, v186, v2
	v_fmac_f32_e32 v46, v185, v2
	v_fma_f32 v47, v185, v3, -v0
	s_waitcnt lgkmcnt(0)
	v_sub_f32_e32 v0, v4, v10
	v_sub_f32_e32 v1, v5, v11
	;; [unrolled: 1-line block ×4, first 2 shown]
	v_fma_f32 v8, v8, 2.0, -v2
	v_fma_f32 v9, v9, 2.0, -v3
	v_fma_f32 v10, v4, 2.0, -v0
	v_fma_f32 v11, v5, 2.0, -v1
	v_sub_f32_e32 v4, v10, v8
	v_sub_f32_e32 v5, v11, v9
	v_add_f32_e32 v14, v0, v3
	v_sub_f32_e32 v15, v1, v2
	v_fma_f32 v12, v10, 2.0, -v4
	v_fma_f32 v13, v11, 2.0, -v5
	;; [unrolled: 1-line block ×4, first 2 shown]
	ds_read2_b64 v[0:3], v208 offset0:32 offset1:176
	ds_read2_b64 v[8:11], v207 offset0:64 offset1:208
	s_waitcnt lgkmcnt(0)
	s_barrier
	ds_write2_b64 v204, v[12:13], v[16:17] offset1:216
	buffer_load_dword v16, off, s[24:27], 0 offset:152 ; 4-byte Folded Reload
	v_add_u32_e32 v12, 0xd00, v204
	ds_write2_b64 v12, v[4:5], v[14:15] offset0:16 offset1:232
	v_sub_f32_e32 v14, v6, v20
	v_sub_f32_e32 v15, v7, v21
	;; [unrolled: 1-line block ×4, first 2 shown]
	v_fma_f32 v6, v6, 2.0, -v14
	v_fma_f32 v7, v7, 2.0, -v15
	;; [unrolled: 1-line block ×4, first 2 shown]
	v_sub_f32_e32 v4, v6, v4
	v_sub_f32_e32 v5, v7, v5
	v_add_f32_e32 v12, v14, v12
	v_sub_f32_e32 v13, v15, v13
	v_fma_f32 v6, v6, 2.0, -v4
	v_fma_f32 v7, v7, 2.0, -v5
	;; [unrolled: 1-line block ×4, first 2 shown]
	s_waitcnt vmcnt(0)
	ds_write2_b64 v16, v[6:7], v[14:15] offset1:216
	buffer_load_dword v6, off, s[24:27], 0 offset:148 ; 4-byte Folded Reload
	buffer_load_dword v16, off, s[24:27], 0 offset:144 ; 4-byte Folded Reload
	v_sub_f32_e32 v7, v22, v40
	s_waitcnt vmcnt(1)
	ds_write2_b64 v6, v[4:5], v[12:13] offset0:16 offset1:232
	v_sub_f32_e32 v12, v0, v24
	v_sub_f32_e32 v13, v1, v25
	;; [unrolled: 1-line block ×3, first 2 shown]
	v_fma_f32 v4, v22, 2.0, -v7
	v_fma_f32 v5, v23, 2.0, -v6
	;; [unrolled: 1-line block ×4, first 2 shown]
	v_sub_f32_e32 v0, v14, v4
	v_sub_f32_e32 v1, v15, v5
	v_add_f32_e32 v6, v12, v6
	v_sub_f32_e32 v7, v13, v7
	v_fma_f32 v4, v14, 2.0, -v0
	v_fma_f32 v5, v15, 2.0, -v1
	;; [unrolled: 1-line block ×4, first 2 shown]
	v_add_u32_e32 v14, 0x1d00, v204
	ds_write2_b64 v14, v[4:5], v[12:13] offset0:8 offset1:224
	buffer_load_dword v12, off, s[24:27], 0 offset:156 ; 4-byte Folded Reload
	v_add_u32_e32 v4, 0x2a00, v204
	ds_write2_b64 v4, v[0:1], v[6:7] offset0:24 offset1:240
	v_sub_f32_e32 v6, v2, v28
	v_sub_f32_e32 v7, v3, v29
	;; [unrolled: 1-line block ×4, first 2 shown]
	v_fma_f32 v2, v2, 2.0, -v6
	v_fma_f32 v3, v3, 2.0, -v7
	;; [unrolled: 1-line block ×4, first 2 shown]
	v_sub_f32_e32 v0, v2, v0
	v_sub_f32_e32 v1, v3, v1
	v_add_f32_e32 v4, v6, v4
	v_sub_f32_e32 v5, v7, v5
	v_fma_f32 v2, v2, 2.0, -v0
	v_fma_f32 v3, v3, 2.0, -v1
	;; [unrolled: 1-line block ×4, first 2 shown]
	v_sub_f32_e32 v14, v10, v36
	v_sub_f32_e32 v15, v11, v37
	;; [unrolled: 1-line block ×3, first 2 shown]
	v_fma_f32 v10, v10, 2.0, -v14
	v_fma_f32 v11, v11, 2.0, -v15
	s_waitcnt vmcnt(0)
	ds_write2_b64 v12, v[2:3], v[6:7] offset1:216
	buffer_load_dword v2, off, s[24:27], 0 offset:160 ; 4-byte Folded Reload
	v_sub_f32_e32 v6, v8, v32
	v_sub_f32_e32 v7, v9, v33
	v_fma_f32 v3, v9, 2.0, -v7
	v_sub_f32_e32 v12, v35, v47
	v_fma_f32 v9, v35, 2.0, -v12
	v_sub_f32_e32 v9, v11, v9
	v_add_f32_e32 v12, v14, v12
	v_fma_f32 v11, v11, 2.0, -v9
	v_fma_f32 v14, v14, 2.0, -v12
	s_waitcnt vmcnt(0)
	ds_write2_b64 v2, v[0:1], v[4:5] offset0:16 offset1:232
	v_sub_f32_e32 v5, v30, v44
	v_sub_f32_e32 v4, v31, v45
	v_fma_f32 v2, v8, 2.0, -v6
	v_fma_f32 v0, v30, 2.0, -v5
	;; [unrolled: 1-line block ×3, first 2 shown]
	v_sub_f32_e32 v0, v2, v0
	v_sub_f32_e32 v1, v3, v1
	v_add_f32_e32 v4, v6, v4
	v_sub_f32_e32 v5, v7, v5
	v_fma_f32 v2, v2, 2.0, -v0
	v_fma_f32 v3, v3, 2.0, -v1
	;; [unrolled: 1-line block ×4, first 2 shown]
	ds_write2_b64 v16, v[2:3], v[6:7] offset1:216
	buffer_load_dword v2, off, s[24:27], 0 offset:132 ; 4-byte Folded Reload
	v_fma_f32 v8, v34, 2.0, -v13
	v_sub_f32_e32 v8, v10, v8
	v_sub_f32_e32 v13, v15, v13
	v_fma_f32 v10, v10, 2.0, -v8
	v_fma_f32 v15, v15, 2.0, -v13
	s_waitcnt vmcnt(0)
	ds_write2_b64 v2, v[0:1], v[4:5] offset0:16 offset1:232
	buffer_load_dword v0, off, s[24:27], 0 offset:136 ; 4-byte Folded Reload
	s_waitcnt vmcnt(0)
	ds_write2_b64 v0, v[10:11], v[14:15] offset0:32 offset1:248
	buffer_load_dword v0, off, s[24:27], 0 offset:140 ; 4-byte Folded Reload
	s_waitcnt vmcnt(0)
	ds_write2_b64 v0, v[8:9], v[12:13] offset0:16 offset1:232
	s_waitcnt lgkmcnt(0)
	s_barrier
	ds_read2_b64 v[0:3], v246 offset0:96 offset1:240
	buffer_load_dword v54, off, s[24:27], 0 offset:68 ; 4-byte Folded Reload
	buffer_load_dword v55, off, s[24:27], 0 offset:72 ; 4-byte Folded Reload
	ds_read2_b64 v[4:7], v204 offset1:144
	ds_read2_b64 v[8:11], v164 offset0:64 offset1:208
	ds_read2_b64 v[12:15], v245 offset1:144
	s_waitcnt lgkmcnt(3)
	v_mul_f32_e32 v18, v93, v1
	v_fmac_f32_e32 v18, v92, v0
	v_mul_f32_e32 v0, v93, v0
	v_fma_f32 v19, v92, v1, -v0
	s_waitcnt lgkmcnt(1)
	v_mul_f32_e32 v0, v95, v8
	v_fma_f32 v21, v94, v9, -v0
	v_mul_f32_e32 v0, v89, v2
	v_mul_f32_e32 v22, v89, v3
	v_fma_f32 v23, v88, v3, -v0
	v_mul_f32_e32 v0, v91, v10
	v_fmac_f32_e32 v22, v88, v2
	v_fma_f32 v25, v90, v11, -v0
	ds_read2_b64 v[0:3], v250 offset0:96 offset1:240
	v_mul_f32_e32 v20, v95, v9
	v_fmac_f32_e32 v20, v94, v8
	s_waitcnt lgkmcnt(1)
	v_mul_f32_e32 v26, v97, v13
	v_mul_f32_e32 v8, v97, v12
	s_waitcnt lgkmcnt(0)
	v_mul_f32_e32 v28, v99, v1
	v_fmac_f32_e32 v28, v98, v0
	v_mul_f32_e32 v0, v99, v0
	v_fma_f32 v29, v98, v1, -v0
	v_mul_f32_e32 v0, v101, v14
	v_fma_f32 v33, v100, v15, -v0
	v_mul_f32_e32 v34, v103, v3
	v_mul_f32_e32 v0, v103, v2
	;; [unrolled: 1-line block ×3, first 2 shown]
	v_fmac_f32_e32 v34, v102, v2
	v_fma_f32 v35, v102, v3, -v0
	ds_read2_b64 v[0:3], v215 offset1:144
	v_mul_f32_e32 v24, v91, v11
	v_fmac_f32_e32 v26, v96, v12
	v_fma_f32 v27, v96, v13, -v8
	v_fmac_f32_e32 v32, v100, v14
	ds_read2_b64 v[12:15], v218 offset0:32 offset1:176
	v_fmac_f32_e32 v24, v90, v10
	ds_read2_b64 v[8:11], v236 offset0:32 offset1:176
	s_waitcnt lgkmcnt(2)
	v_mul_f32_e32 v40, v111, v1
	v_fmac_f32_e32 v40, v110, v0
	v_mul_f32_e32 v0, v111, v0
	s_waitcnt lgkmcnt(1)
	v_mul_f32_e32 v30, v192, v13
	s_waitcnt lgkmcnt(0)
	v_mul_f32_e32 v38, v109, v9
	v_fma_f32 v41, v110, v1, -v0
	v_mul_f32_e32 v0, v105, v10
	v_fmac_f32_e32 v30, v191, v12
	v_mul_f32_e32 v12, v192, v12
	v_fmac_f32_e32 v38, v108, v8
	v_mul_f32_e32 v8, v109, v8
	v_mul_f32_e32 v44, v105, v11
	v_fma_f32 v45, v104, v11, -v0
	v_mul_f32_e32 v46, v107, v3
	v_mul_f32_e32 v0, v107, v2
	v_fma_f32 v31, v191, v13, -v12
	;; [unrolled: 3-line block ×3, first 2 shown]
	v_fmac_f32_e32 v44, v104, v10
	v_fmac_f32_e32 v46, v106, v2
	v_fma_f32 v47, v106, v3, -v0
	ds_read2_b64 v[0:3], v208 offset0:32 offset1:176
	ds_read2_b64 v[8:11], v234 offset0:64 offset1:208
	v_fmac_f32_e32 v36, v189, v14
	v_fma_f32 v37, v189, v15, -v12
	ds_read2_b64 v[12:15], v247 offset0:96 offset1:240
	v_sub_f32_e32 v20, v4, v20
	s_waitcnt lgkmcnt(1)
	v_mul_f32_e32 v42, v194, v9
	v_fmac_f32_e32 v42, v193, v8
	v_mul_f32_e32 v8, v194, v8
	s_waitcnt lgkmcnt(0)
	v_mul_f32_e32 v50, v200, v13
	v_fmac_f32_e32 v50, v199, v12
	v_mul_f32_e32 v12, v200, v12
	v_fma_f32 v51, v199, v13, -v12
	v_mul_f32_e32 v52, v198, v15
	v_mul_f32_e32 v12, v198, v14
	v_fmac_f32_e32 v52, v197, v14
	v_fma_f32 v53, v197, v15, -v12
	v_sub_f32_e32 v21, v5, v21
	v_sub_f32_e32 v15, v18, v30
	v_sub_f32_e32 v14, v19, v31
	v_fma_f32 v43, v193, v9, -v8
	v_fma_f32 v12, v4, 2.0, -v20
	v_fma_f32 v13, v5, 2.0, -v21
	;; [unrolled: 1-line block ×4, first 2 shown]
	v_add_f32_e32 v14, v20, v14
	v_sub_f32_e32 v15, v21, v15
	v_sub_f32_e32 v24, v6, v24
	;; [unrolled: 1-line block ×5, first 2 shown]
	v_mul_f32_e32 v48, v196, v11
	v_mul_f32_e32 v8, v196, v10
	v_fma_f32 v18, v20, 2.0, -v14
	v_fma_f32 v19, v21, 2.0, -v15
	;; [unrolled: 1-line block ×6, first 2 shown]
	v_add_f32_e32 v22, v24, v31
	v_sub_f32_e32 v23, v25, v30
	v_sub_f32_e32 v30, v0, v28
	v_sub_f32_e32 v31, v1, v29
	v_sub_f32_e32 v36, v26, v42
	v_sub_f32_e32 v37, v27, v43
	v_fmac_f32_e32 v48, v195, v10
	v_fma_f32 v49, v195, v11, -v8
	ds_read2_b64 v[8:11], v207 offset0:64 offset1:208
	v_fma_f32 v28, v0, 2.0, -v30
	v_fma_f32 v29, v1, 2.0, -v31
	;; [unrolled: 1-line block ×4, first 2 shown]
	v_sub_f32_e32 v0, v28, v0
	v_sub_f32_e32 v1, v29, v1
	v_fma_f32 v26, v28, 2.0, -v0
	v_fma_f32 v27, v29, 2.0, -v1
	v_add_f32_e32 v28, v30, v37
	v_sub_f32_e32 v29, v31, v36
	v_sub_f32_e32 v36, v2, v34
	;; [unrolled: 1-line block ×5, first 2 shown]
	v_fma_f32 v34, v2, 2.0, -v36
	v_fma_f32 v35, v3, 2.0, -v37
	;; [unrolled: 1-line block ×4, first 2 shown]
	v_sub_f32_e32 v2, v34, v2
	v_sub_f32_e32 v3, v35, v3
	v_fma_f32 v32, v34, 2.0, -v2
	v_fma_f32 v33, v35, 2.0, -v3
	v_add_f32_e32 v34, v36, v43
	v_sub_f32_e32 v35, v37, v42
	s_waitcnt lgkmcnt(0)
	v_sub_f32_e32 v42, v8, v40
	v_sub_f32_e32 v43, v9, v41
	;; [unrolled: 1-line block ×4, first 2 shown]
	v_fma_f32 v40, v8, 2.0, -v42
	v_fma_f32 v41, v9, 2.0, -v43
	;; [unrolled: 1-line block ×4, first 2 shown]
	v_sub_f32_e32 v8, v40, v8
	v_sub_f32_e32 v9, v41, v9
	v_fma_f32 v38, v40, 2.0, -v8
	v_fma_f32 v39, v41, 2.0, -v9
	v_add_f32_e32 v40, v42, v49
	v_sub_f32_e32 v41, v43, v48
	v_sub_f32_e32 v48, v10, v46
	v_sub_f32_e32 v49, v11, v47
	v_sub_f32_e32 v50, v44, v52
	v_sub_f32_e32 v51, v45, v53
	v_sub_f32_e32 v4, v12, v4
	v_sub_f32_e32 v5, v13, v5
	v_sub_f32_e32 v6, v20, v6
	v_sub_f32_e32 v7, v21, v7
	v_fma_f32 v46, v10, 2.0, -v48
	v_fma_f32 v47, v11, 2.0, -v49
	;; [unrolled: 1-line block ×12, first 2 shown]
	v_sub_f32_e32 v10, v46, v10
	v_sub_f32_e32 v11, v47, v11
	ds_write_b64 v204, v[18:19] offset:6912
	ds_write_b64 v204, v[4:5] offset:13824
	;; [unrolled: 1-line block ×3, first 2 shown]
	ds_write2_b64 v204, v[12:13], v[20:21] offset1:144
	ds_write_b64 v204, v[6:7] offset:14976
	ds_write_b64 v204, v[22:23] offset:21888
	v_add_u32_e32 v4, 0x1e00, v204
	s_waitcnt vmcnt(1)
	v_mad_u64_u32 v[16:17], s[6:7], s2, v54, 0
	v_fma_f32 v36, v36, 2.0, -v34
	v_fma_f32 v37, v37, 2.0, -v35
	;; [unrolled: 1-line block ×6, first 2 shown]
	v_add_f32_e32 v46, v48, v51
	v_sub_f32_e32 v47, v49, v50
	ds_write2_b64 v4, v[24:25], v[30:31] offset0:48 offset1:192
	ds_write2_b64 v208, v[26:27], v[32:33] offset0:32 offset1:176
	;; [unrolled: 1-line block ×4, first 2 shown]
	v_add_u32_e32 v0, 0x2800, v204
	v_fma_f32 v48, v48, 2.0, -v46
	v_fma_f32 v49, v49, 2.0, -v47
	ds_write2_b64 v0, v[36:37], v[42:43] offset0:16 offset1:160
	ds_write2_b64 v207, v[38:39], v[44:45] offset0:64 offset1:208
	ds_write_b64 v204, v[48:49] offset:12672
	ds_write2_b64 v215, v[8:9], v[10:11] offset1:144
	ds_write2_b64 v247, v[40:41], v[46:47] offset0:96 offset1:240
	s_waitcnt vmcnt(0) lgkmcnt(0)
	s_barrier
	ds_read2_b64 v[0:3], v204 offset1:144
	v_mov_b32_e32 v4, v17
	v_mad_u64_u32 v[4:5], s[2:3], s3, v54, v[4:5]
	s_mov_b32 s2, 0xbda12f68
	s_waitcnt lgkmcnt(0)
	v_mul_f32_e32 v5, v224, v1
	v_fmac_f32_e32 v5, v223, v0
	v_cvt_f64_f32_e32 v[5:6], v5
	s_mov_b32 s3, 0x3f32f684
	v_mad_u64_u32 v[8:9], s[6:7], s0, v203, 0
	v_mul_f64 v[5:6], v[5:6], s[2:3]
	v_mul_f32_e32 v0, v224, v0
	v_fma_f32 v0, v223, v1, -v0
	v_cvt_f64_f32_e32 v[0:1], v0
	v_mov_b32_e32 v17, v4
	v_mov_b32_e32 v4, v9
	;; [unrolled: 1-line block ×3, first 2 shown]
	v_mul_f64 v[0:1], v[0:1], s[2:3]
	v_mad_u64_u32 v[9:10], s[6:7], s1, v203, v[4:5]
	v_cvt_f32_f64_e32 v10, v[5:6]
	ds_read2_b64 v[4:7], v207 offset0:64 offset1:208
	v_lshlrev_b64 v[8:9], 3, v[8:9]
	s_mul_hi_u32 s5, s0, 0x1200
	v_cvt_f32_f64_e32 v11, v[0:1]
	s_waitcnt lgkmcnt(0)
	v_mul_f32_e32 v12, v228, v5
	v_fmac_f32_e32 v12, v227, v4
	v_mul_f32_e32 v4, v228, v4
	v_fma_f32 v4, v227, v5, -v4
	v_cvt_f64_f32_e32 v[12:13], v12
	v_cvt_f64_f32_e32 v[4:5], v4
	v_lshlrev_b64 v[0:1], 3, v[16:17]
	v_add_co_u32_e32 v24, vcc, s4, v0
	v_addc_co_u32_e32 v25, vcc, v14, v1, vcc
	v_mul_f64 v[0:1], v[12:13], s[2:3]
	v_mul_f64 v[4:5], v[4:5], s[2:3]
	v_add_co_u32_e32 v16, vcc, v24, v8
	v_addc_co_u32_e32 v17, vcc, v25, v9, vcc
	global_store_dwordx2 v[16:17], v[10:11], off
	ds_read2_b64 v[8:11], v245 offset1:144
	v_cvt_f32_f64_e32 v0, v[0:1]
	v_cvt_f32_f64_e32 v1, v[4:5]
	ds_read2_b64 v[12:15], v164 offset0:64 offset1:208
	s_mul_i32 s4, s1, 0x1200
	s_waitcnt lgkmcnt(1)
	v_mul_f32_e32 v4, v240, v9
	v_fmac_f32_e32 v4, v239, v8
	v_mul_f32_e32 v8, v240, v8
	v_fma_f32 v8, v239, v9, -v8
	v_cvt_f64_f32_e32 v[4:5], v4
	v_cvt_f64_f32_e32 v[8:9], v8
	s_add_i32 s4, s5, s4
	s_mul_i32 s5, s0, 0x1200
	v_mov_b32_e32 v18, s4
	v_add_co_u32_e32 v20, vcc, s5, v16
	v_addc_co_u32_e32 v21, vcc, v17, v18, vcc
	v_mul_f64 v[4:5], v[4:5], s[2:3]
	v_mul_f64 v[8:9], v[8:9], s[2:3]
	global_store_dwordx2 v[20:21], v[0:1], off
	s_waitcnt lgkmcnt(0)
	v_mul_f32_e32 v0, v255, v13
	v_fmac_f32_e32 v0, v254, v12
	v_cvt_f64_f32_e32 v[0:1], v0
	ds_read2_b64 v[16:19], v215 offset1:144
	v_mov_b32_e32 v22, s4
	v_cvt_f32_f64_e32 v4, v[4:5]
	v_mul_f64 v[0:1], v[0:1], s[2:3]
	v_cvt_f32_f64_e32 v5, v[8:9]
	v_mul_f32_e32 v8, v255, v12
	v_fma_f32 v8, v254, v13, -v8
	v_cvt_f64_f32_e32 v[8:9], v8
	v_add_co_u32_e32 v12, vcc, s5, v20
	v_addc_co_u32_e32 v13, vcc, v21, v22, vcc
	global_store_dwordx2 v[12:13], v[4:5], off
	v_mul_f64 v[4:5], v[8:9], s[2:3]
	v_cvt_f32_f64_e32 v0, v[0:1]
	s_waitcnt lgkmcnt(0)
	v_mul_f32_e32 v1, v244, v17
	v_fmac_f32_e32 v1, v243, v16
	v_cvt_f64_f32_e32 v[8:9], v1
	v_mul_f32_e32 v1, v244, v16
	v_fma_f32 v1, v243, v17, -v1
	v_cvt_f64_f32_e32 v[16:17], v1
	v_cvt_f32_f64_e32 v1, v[4:5]
	v_mul_f64 v[4:5], v[8:9], s[2:3]
	v_mov_b32_e32 v20, s4
	v_mul_f64 v[8:9], v[16:17], s[2:3]
	buffer_load_dword v16, off, s[24:27], 0 ; 4-byte Folded Reload
	v_add_co_u32_e32 v12, vcc, s5, v12
	v_addc_co_u32_e32 v13, vcc, v13, v20, vcc
	ds_read2_b64 v[20:23], v234 offset0:64 offset1:208
	global_store_dwordx2 v[12:13], v[0:1], off
	v_cvt_f32_f64_e32 v4, v[4:5]
	v_cvt_f32_f64_e32 v5, v[8:9]
	s_waitcnt vmcnt(1)
	v_mad_u64_u32 v[0:1], s[6:7], s0, v16, 0
	v_mad_u64_u32 v[8:9], s[6:7], s1, v16, v[1:2]
	s_waitcnt lgkmcnt(0)
	v_mul_f32_e32 v1, v231, v21
	v_fmac_f32_e32 v1, v230, v20
	v_cvt_f64_f32_e32 v[16:17], v1
	v_mul_f32_e32 v1, v231, v20
	v_fma_f32 v1, v230, v21, -v1
	v_cvt_f64_f32_e32 v[20:21], v1
	v_mov_b32_e32 v1, v8
	v_mul_f64 v[8:9], v[16:17], s[2:3]
	v_lshlrev_b64 v[0:1], 3, v[0:1]
	v_mul_f64 v[16:17], v[20:21], s[2:3]
	v_add_co_u32_e32 v0, vcc, v24, v0
	v_addc_co_u32_e32 v1, vcc, v25, v1, vcc
	global_store_dwordx2 v[0:1], v[4:5], off
	v_cvt_f32_f64_e32 v8, v[8:9]
	v_mov_b32_e32 v9, 0x2400
	v_mad_u64_u32 v[12:13], s[6:7], s0, v9, v[12:13]
	v_cvt_f32_f64_e32 v9, v[16:17]
	s_mul_i32 s6, s1, 0x2400
	v_add_u32_e32 v13, s6, v13
	v_mul_f32_e32 v20, v233, v3
	global_store_dwordx2 v[12:13], v[8:9], off
	buffer_load_dword v8, off, s[24:27], 0 offset:84 ; 4-byte Folded Reload
	s_nop 0
	buffer_load_dword v9, off, s[24:27], 0 offset:88 ; 4-byte Folded Reload
	v_fmac_f32_e32 v20, v232, v2
	v_mul_f32_e32 v2, v233, v2
	v_fma_f32 v2, v232, v3, -v2
	v_cvt_f64_f32_e32 v[2:3], v2
	v_cvt_f64_f32_e32 v[20:21], v20
	s_mul_hi_u32 s6, s0, 0xffffaa80
	s_mulk_i32 s1, 0xaa80
	v_mul_f64 v[2:3], v[2:3], s[2:3]
	v_mul_f64 v[20:21], v[20:21], s[2:3]
	s_sub_i32 s6, s6, s0
	s_add_i32 s1, s6, s1
	s_mulk_i32 s0, 0xaa80
	v_mov_b32_e32 v17, s1
	v_mov_b32_e32 v24, s4
	v_cvt_f32_f64_e32 v1, v[2:3]
	v_cvt_f32_f64_e32 v0, v[20:21]
	s_waitcnt vmcnt(0)
	v_mul_f32_e32 v2, v9, v7
	v_mul_f32_e32 v4, v9, v6
	v_fmac_f32_e32 v2, v8, v6
	v_fma_f32 v4, v8, v7, -v4
	v_cvt_f64_f32_e32 v[2:3], v2
	v_cvt_f64_f32_e32 v[4:5], v4
	v_mov_b32_e32 v7, s1
	v_add_co_u32_e32 v6, vcc, s0, v12
	v_addc_co_u32_e32 v7, vcc, v13, v7, vcc
	v_mul_f64 v[2:3], v[2:3], s[2:3]
	v_mul_f64 v[4:5], v[4:5], s[2:3]
	global_store_dwordx2 v[6:7], v[0:1], off
	v_mul_f32_e32 v0, v214, v11
	v_fmac_f32_e32 v0, v213, v10
	v_cvt_f64_f32_e32 v[0:1], v0
	v_mov_b32_e32 v8, s4
	v_add_co_u32_e32 v6, vcc, s5, v6
	v_mul_f64 v[0:1], v[0:1], s[2:3]
	v_cvt_f32_f64_e32 v2, v[2:3]
	v_cvt_f32_f64_e32 v3, v[4:5]
	v_mul_f32_e32 v4, v214, v10
	v_fma_f32 v4, v213, v11, -v4
	v_cvt_f64_f32_e32 v[4:5], v4
	v_addc_co_u32_e32 v7, vcc, v7, v8, vcc
	global_store_dwordx2 v[6:7], v[2:3], off
	v_mul_f64 v[2:3], v[4:5], s[2:3]
	v_cvt_f32_f64_e32 v0, v[0:1]
	v_mul_f32_e32 v1, v222, v15
	v_fmac_f32_e32 v1, v221, v14
	v_cvt_f64_f32_e32 v[4:5], v1
	v_mul_f32_e32 v1, v222, v14
	v_fma_f32 v1, v221, v15, -v1
	v_cvt_f64_f32_e32 v[8:9], v1
	v_cvt_f32_f64_e32 v1, v[2:3]
	v_mul_f64 v[2:3], v[4:5], s[2:3]
	v_mov_b32_e32 v10, s4
	v_mul_f64 v[4:5], v[8:9], s[2:3]
	v_add_co_u32_e32 v6, vcc, s5, v6
	v_addc_co_u32_e32 v7, vcc, v7, v10, vcc
	global_store_dwordx2 v[6:7], v[0:1], off
	v_mul_f32_e32 v0, v210, v19
	v_fmac_f32_e32 v0, v209, v18
	v_cvt_f32_f64_e32 v2, v[2:3]
	v_cvt_f32_f64_e32 v3, v[4:5]
	v_mul_f32_e32 v4, v210, v18
	v_cvt_f64_f32_e32 v[0:1], v0
	v_fma_f32 v4, v209, v19, -v4
	v_cvt_f64_f32_e32 v[4:5], v4
	v_mov_b32_e32 v8, s4
	v_add_co_u32_e32 v6, vcc, s5, v6
	v_mul_f64 v[0:1], v[0:1], s[2:3]
	v_addc_co_u32_e32 v7, vcc, v7, v8, vcc
	global_store_dwordx2 v[6:7], v[2:3], off
	v_mul_f64 v[2:3], v[4:5], s[2:3]
	v_mul_f32_e32 v5, v212, v22
	v_fma_f32 v5, v211, v23, -v5
	v_cvt_f64_f32_e32 v[8:9], v5
	v_cvt_f32_f64_e32 v4, v[0:1]
	v_mul_f32_e32 v0, v212, v23
	v_fmac_f32_e32 v0, v211, v22
	v_cvt_f64_f32_e32 v[0:1], v0
	v_cvt_f32_f64_e32 v5, v[2:3]
	v_mov_b32_e32 v13, s4
	v_add_co_u32_e32 v12, vcc, s5, v6
	v_addc_co_u32_e32 v13, vcc, v7, v13, vcc
	global_store_dwordx2 v[12:13], v[4:5], off
	v_mul_f64 v[10:11], v[0:1], s[2:3]
	ds_read2_b64 v[0:3], v208 offset0:32 offset1:176
	buffer_load_dword v6, off, s[24:27], 0 offset:52 ; 4-byte Folded Reload
	buffer_load_dword v7, off, s[24:27], 0 offset:56 ; 4-byte Folded Reload
	v_mul_f64 v[8:9], v[8:9], s[2:3]
	v_mov_b32_e32 v14, s4
	v_add_co_u32_e32 v12, vcc, s5, v12
	v_addc_co_u32_e32 v13, vcc, v13, v14, vcc
	v_cvt_f32_f64_e32 v10, v[10:11]
	v_add_co_u32_e32 v16, vcc, s0, v12
	v_cvt_f32_f64_e32 v11, v[8:9]
	v_addc_co_u32_e32 v17, vcc, v13, v17, vcc
	v_mov_b32_e32 v18, s4
	global_store_dwordx2 v[12:13], v[10:11], off
	s_waitcnt vmcnt(1) lgkmcnt(0)
	v_mul_f32_e32 v4, v7, v1
	v_fmac_f32_e32 v4, v6, v0
	v_mul_f32_e32 v0, v7, v0
	v_cvt_f64_f32_e32 v[4:5], v4
	v_fma_f32 v0, v6, v1, -v0
	v_cvt_f64_f32_e32 v[0:1], v0
	v_mul_f64 v[8:9], v[4:5], s[2:3]
	ds_read2_b64 v[4:7], v246 offset0:96 offset1:240
	v_mul_f64 v[0:1], v[0:1], s[2:3]
	v_cvt_f32_f64_e32 v14, v[8:9]
	s_waitcnt lgkmcnt(0)
	v_mul_f32_e32 v8, v242, v5
	v_fmac_f32_e32 v8, v241, v4
	v_cvt_f32_f64_e32 v15, v[0:1]
	v_cvt_f64_f32_e32 v[8:9], v8
	v_mul_f32_e32 v4, v242, v4
	v_fma_f32 v4, v241, v5, -v4
	global_store_dwordx2 v[16:17], v[14:15], off
	v_mul_f64 v[0:1], v[8:9], s[2:3]
	ds_read2_b64 v[8:11], v236 offset0:32 offset1:176
	buffer_load_dword v14, off, s[24:27], 0 offset:164 ; 4-byte Folded Reload
	buffer_load_dword v15, off, s[24:27], 0 offset:168 ; 4-byte Folded Reload
	v_cvt_f64_f32_e32 v[4:5], v4
	v_add_co_u32_e32 v16, vcc, s5, v16
	v_addc_co_u32_e32 v17, vcc, v17, v18, vcc
	v_mul_f64 v[4:5], v[4:5], s[2:3]
	v_cvt_f32_f64_e32 v0, v[0:1]
	v_cvt_f32_f64_e32 v1, v[4:5]
	global_store_dwordx2 v[16:17], v[0:1], off
	s_waitcnt vmcnt(1) lgkmcnt(0)
	v_mul_f32_e32 v12, v15, v9
	v_fmac_f32_e32 v12, v14, v8
	v_cvt_f64_f32_e32 v[12:13], v12
	v_mul_f32_e32 v8, v15, v8
	v_fma_f32 v8, v14, v9, -v8
	v_cvt_f64_f32_e32 v[8:9], v8
	v_mul_f64 v[4:5], v[12:13], s[2:3]
	ds_read2_b64 v[12:15], v250 offset0:96 offset1:240
	buffer_load_dword v18, off, s[24:27], 0 offset:76 ; 4-byte Folded Reload
	buffer_load_dword v19, off, s[24:27], 0 offset:80 ; 4-byte Folded Reload
	v_mul_f64 v[0:1], v[8:9], s[2:3]
	v_cvt_f32_f64_e32 v4, v[4:5]
	s_waitcnt vmcnt(0) lgkmcnt(0)
	v_mul_f32_e32 v5, v19, v13
	v_fmac_f32_e32 v5, v18, v12
	v_cvt_f64_f32_e32 v[8:9], v5
	v_mul_f32_e32 v5, v19, v12
	v_fma_f32 v5, v18, v13, -v5
	v_cvt_f64_f32_e32 v[12:13], v5
	v_cvt_f32_f64_e32 v5, v[0:1]
	v_mov_b32_e32 v18, s4
	v_mul_f64 v[0:1], v[8:9], s[2:3]
	v_mul_f64 v[8:9], v[12:13], s[2:3]
	v_add_co_u32_e32 v12, vcc, s5, v16
	v_addc_co_u32_e32 v13, vcc, v17, v18, vcc
	global_store_dwordx2 v[12:13], v[4:5], off
	ds_read2_b64 v[16:19], v218 offset0:32 offset1:176
	buffer_load_dword v20, off, s[24:27], 0 offset:60 ; 4-byte Folded Reload
	buffer_load_dword v21, off, s[24:27], 0 offset:64 ; 4-byte Folded Reload
	v_cvt_f32_f64_e32 v0, v[0:1]
	v_cvt_f32_f64_e32 v1, v[8:9]
	v_add_co_u32_e32 v12, vcc, s5, v12
	v_addc_co_u32_e32 v13, vcc, v13, v24, vcc
	global_store_dwordx2 v[12:13], v[0:1], off
	v_add_co_u32_e32 v12, vcc, s5, v12
	s_waitcnt vmcnt(1) lgkmcnt(0)
	v_mul_f32_e32 v4, v21, v17
	v_mul_f32_e32 v8, v21, v16
	v_fmac_f32_e32 v4, v20, v16
	v_fma_f32 v8, v20, v17, -v8
	v_cvt_f64_f32_e32 v[4:5], v4
	v_cvt_f64_f32_e32 v[8:9], v8
	ds_read2_b64 v[20:23], v247 offset0:96 offset1:240
	v_mul_f64 v[0:1], v[4:5], s[2:3]
	v_mul_f64 v[4:5], v[8:9], s[2:3]
	s_waitcnt lgkmcnt(0)
	v_mul_f32_e32 v8, v226, v21
	v_mul_f32_e32 v16, v226, v20
	v_fmac_f32_e32 v8, v225, v20
	v_fma_f32 v16, v225, v21, -v16
	v_cvt_f64_f32_e32 v[8:9], v8
	v_cvt_f64_f32_e32 v[16:17], v16
	v_cvt_f32_f64_e32 v0, v[0:1]
	v_cvt_f32_f64_e32 v1, v[4:5]
	v_mul_f64 v[4:5], v[8:9], s[2:3]
	v_mul_f64 v[8:9], v[16:17], s[2:3]
	v_mov_b32_e32 v16, s4
	v_addc_co_u32_e32 v13, vcc, v13, v16, vcc
	global_store_dwordx2 v[12:13], v[0:1], off
	buffer_load_dword v16, off, s[24:27], 0 offset:36 ; 4-byte Folded Reload
	buffer_load_dword v17, off, s[24:27], 0 offset:40 ; 4-byte Folded Reload
	v_cvt_f32_f64_e32 v0, v[4:5]
	v_cvt_f32_f64_e32 v1, v[8:9]
	v_mov_b32_e32 v9, s4
	v_add_co_u32_e32 v8, vcc, s5, v12
	v_addc_co_u32_e32 v9, vcc, v13, v9, vcc
	global_store_dwordx2 v[8:9], v[0:1], off
	buffer_load_dword v12, off, s[24:27], 0 offset:28 ; 4-byte Folded Reload
	buffer_load_dword v13, off, s[24:27], 0 offset:32 ; 4-byte Folded Reload
	s_waitcnt vmcnt(3)
	v_mul_f32_e32 v4, v17, v3
	v_fmac_f32_e32 v4, v16, v2
	v_mul_f32_e32 v2, v17, v2
	v_fma_f32 v2, v16, v3, -v2
	v_cvt_f64_f32_e32 v[4:5], v4
	v_cvt_f64_f32_e32 v[2:3], v2
	v_mul_f64 v[0:1], v[4:5], s[2:3]
	v_mul_f64 v[2:3], v[2:3], s[2:3]
	s_waitcnt vmcnt(0)
	v_mul_f32_e32 v4, v13, v7
	v_fmac_f32_e32 v4, v12, v6
	v_mul_f32_e32 v6, v13, v6
	v_fma_f32 v6, v12, v7, -v6
	v_cvt_f64_f32_e32 v[4:5], v4
	v_cvt_f64_f32_e32 v[6:7], v6
	v_cvt_f32_f64_e32 v0, v[0:1]
	v_cvt_f32_f64_e32 v1, v[2:3]
	v_mul_f64 v[2:3], v[4:5], s[2:3]
	v_mul_f64 v[4:5], v[6:7], s[2:3]
	v_mov_b32_e32 v7, s1
	v_add_co_u32_e32 v6, vcc, s0, v8
	v_addc_co_u32_e32 v7, vcc, v9, v7, vcc
	global_store_dwordx2 v[6:7], v[0:1], off
	buffer_load_dword v12, off, s[24:27], 0 offset:20 ; 4-byte Folded Reload
	buffer_load_dword v13, off, s[24:27], 0 offset:24 ; 4-byte Folded Reload
	v_cvt_f32_f64_e32 v0, v[2:3]
	v_cvt_f32_f64_e32 v1, v[4:5]
	v_mov_b32_e32 v8, s4
	v_add_co_u32_e32 v6, vcc, s5, v6
	v_addc_co_u32_e32 v7, vcc, v7, v8, vcc
	global_store_dwordx2 v[6:7], v[0:1], off
	v_add_co_u32_e32 v6, vcc, s5, v6
	s_waitcnt vmcnt(1)
	v_mul_f32_e32 v2, v13, v11
	v_fmac_f32_e32 v2, v12, v10
	v_mul_f32_e32 v4, v13, v10
	buffer_load_dword v9, off, s[24:27], 0 offset:44 ; 4-byte Folded Reload
	buffer_load_dword v10, off, s[24:27], 0 offset:48 ; 4-byte Folded Reload
	v_fma_f32 v4, v12, v11, -v4
	v_cvt_f64_f32_e32 v[2:3], v2
	v_cvt_f64_f32_e32 v[4:5], v4
	v_mul_f64 v[0:1], v[2:3], s[2:3]
	v_mul_f64 v[2:3], v[4:5], s[2:3]
	v_cvt_f32_f64_e32 v0, v[0:1]
	v_cvt_f32_f64_e32 v1, v[2:3]
	s_waitcnt vmcnt(0)
	v_mul_f32_e32 v4, v10, v15
	v_mul_f32_e32 v8, v10, v14
	v_fmac_f32_e32 v4, v9, v14
	v_fma_f32 v8, v9, v15, -v8
	v_cvt_f64_f32_e32 v[4:5], v4
	v_cvt_f64_f32_e32 v[8:9], v8
	v_mul_f64 v[2:3], v[4:5], s[2:3]
	v_mul_f64 v[4:5], v[8:9], s[2:3]
	v_mov_b32_e32 v8, s4
	v_addc_co_u32_e32 v7, vcc, v7, v8, vcc
	global_store_dwordx2 v[6:7], v[0:1], off
	buffer_load_dword v9, off, s[24:27], 0 offset:12 ; 4-byte Folded Reload
	buffer_load_dword v10, off, s[24:27], 0 offset:16 ; 4-byte Folded Reload
	v_add_co_u32_e32 v6, vcc, s5, v6
	v_cvt_f32_f64_e32 v0, v[2:3]
	v_cvt_f32_f64_e32 v1, v[4:5]
	v_addc_co_u32_e32 v7, vcc, v7, v8, vcc
	global_store_dwordx2 v[6:7], v[0:1], off
	v_add_co_u32_e32 v6, vcc, s5, v6
	s_waitcnt vmcnt(1)
	v_mul_f32_e32 v2, v10, v19
	v_mul_f32_e32 v4, v10, v18
	v_fmac_f32_e32 v2, v9, v18
	v_fma_f32 v4, v9, v19, -v4
	buffer_load_dword v9, off, s[24:27], 0 offset:4 ; 4-byte Folded Reload
	buffer_load_dword v10, off, s[24:27], 0 offset:8 ; 4-byte Folded Reload
	v_cvt_f64_f32_e32 v[2:3], v2
	v_cvt_f64_f32_e32 v[4:5], v4
	v_mul_f64 v[0:1], v[2:3], s[2:3]
	v_mul_f64 v[2:3], v[4:5], s[2:3]
	v_cvt_f32_f64_e32 v0, v[0:1]
	v_cvt_f32_f64_e32 v1, v[2:3]
	s_waitcnt vmcnt(0)
	v_mul_f32_e32 v4, v10, v23
	v_mul_f32_e32 v8, v10, v22
	v_fmac_f32_e32 v4, v9, v22
	v_fma_f32 v8, v9, v23, -v8
	v_cvt_f64_f32_e32 v[4:5], v4
	v_cvt_f64_f32_e32 v[8:9], v8
	v_mul_f64 v[2:3], v[4:5], s[2:3]
	v_mul_f64 v[4:5], v[8:9], s[2:3]
	v_mov_b32_e32 v8, s4
	v_addc_co_u32_e32 v7, vcc, v7, v8, vcc
	global_store_dwordx2 v[6:7], v[0:1], off
	v_cvt_f32_f64_e32 v0, v[2:3]
	v_cvt_f32_f64_e32 v1, v[4:5]
	v_mov_b32_e32 v3, s4
	v_add_co_u32_e32 v2, vcc, s5, v6
	v_addc_co_u32_e32 v3, vcc, v7, v3, vcc
	global_store_dwordx2 v[2:3], v[0:1], off
.LBB0_2:
	s_endpgm
	.section	.rodata,"a",@progbits
	.p2align	6, 0x0
	.amdhsa_kernel bluestein_single_fwd_len3456_dim1_sp_op_CI_CI
		.amdhsa_group_segment_fixed_size 27648
		.amdhsa_private_segment_fixed_size 176
		.amdhsa_kernarg_size 104
		.amdhsa_user_sgpr_count 6
		.amdhsa_user_sgpr_private_segment_buffer 1
		.amdhsa_user_sgpr_dispatch_ptr 0
		.amdhsa_user_sgpr_queue_ptr 0
		.amdhsa_user_sgpr_kernarg_segment_ptr 1
		.amdhsa_user_sgpr_dispatch_id 0
		.amdhsa_user_sgpr_flat_scratch_init 0
		.amdhsa_user_sgpr_private_segment_size 0
		.amdhsa_uses_dynamic_stack 0
		.amdhsa_system_sgpr_private_segment_wavefront_offset 1
		.amdhsa_system_sgpr_workgroup_id_x 1
		.amdhsa_system_sgpr_workgroup_id_y 0
		.amdhsa_system_sgpr_workgroup_id_z 0
		.amdhsa_system_sgpr_workgroup_info 0
		.amdhsa_system_vgpr_workitem_id 0
		.amdhsa_next_free_vgpr 256
		.amdhsa_next_free_sgpr 28
		.amdhsa_reserve_vcc 1
		.amdhsa_reserve_flat_scratch 0
		.amdhsa_float_round_mode_32 0
		.amdhsa_float_round_mode_16_64 0
		.amdhsa_float_denorm_mode_32 3
		.amdhsa_float_denorm_mode_16_64 3
		.amdhsa_dx10_clamp 1
		.amdhsa_ieee_mode 1
		.amdhsa_fp16_overflow 0
		.amdhsa_exception_fp_ieee_invalid_op 0
		.amdhsa_exception_fp_denorm_src 0
		.amdhsa_exception_fp_ieee_div_zero 0
		.amdhsa_exception_fp_ieee_overflow 0
		.amdhsa_exception_fp_ieee_underflow 0
		.amdhsa_exception_fp_ieee_inexact 0
		.amdhsa_exception_int_div_zero 0
	.end_amdhsa_kernel
	.text
.Lfunc_end0:
	.size	bluestein_single_fwd_len3456_dim1_sp_op_CI_CI, .Lfunc_end0-bluestein_single_fwd_len3456_dim1_sp_op_CI_CI
                                        ; -- End function
	.section	.AMDGPU.csdata,"",@progbits
; Kernel info:
; codeLenInByte = 21508
; NumSgprs: 32
; NumVgprs: 256
; ScratchSize: 176
; MemoryBound: 0
; FloatMode: 240
; IeeeMode: 1
; LDSByteSize: 27648 bytes/workgroup (compile time only)
; SGPRBlocks: 3
; VGPRBlocks: 63
; NumSGPRsForWavesPerEU: 32
; NumVGPRsForWavesPerEU: 256
; Occupancy: 1
; WaveLimiterHint : 1
; COMPUTE_PGM_RSRC2:SCRATCH_EN: 1
; COMPUTE_PGM_RSRC2:USER_SGPR: 6
; COMPUTE_PGM_RSRC2:TRAP_HANDLER: 0
; COMPUTE_PGM_RSRC2:TGID_X_EN: 1
; COMPUTE_PGM_RSRC2:TGID_Y_EN: 0
; COMPUTE_PGM_RSRC2:TGID_Z_EN: 0
; COMPUTE_PGM_RSRC2:TIDIG_COMP_CNT: 0
	.type	__hip_cuid_9f48ce36970e2825,@object ; @__hip_cuid_9f48ce36970e2825
	.section	.bss,"aw",@nobits
	.globl	__hip_cuid_9f48ce36970e2825
__hip_cuid_9f48ce36970e2825:
	.byte	0                               ; 0x0
	.size	__hip_cuid_9f48ce36970e2825, 1

	.ident	"AMD clang version 19.0.0git (https://github.com/RadeonOpenCompute/llvm-project roc-6.4.0 25133 c7fe45cf4b819c5991fe208aaa96edf142730f1d)"
	.section	".note.GNU-stack","",@progbits
	.addrsig
	.addrsig_sym __hip_cuid_9f48ce36970e2825
	.amdgpu_metadata
---
amdhsa.kernels:
  - .args:
      - .actual_access:  read_only
        .address_space:  global
        .offset:         0
        .size:           8
        .value_kind:     global_buffer
      - .actual_access:  read_only
        .address_space:  global
        .offset:         8
        .size:           8
        .value_kind:     global_buffer
      - .actual_access:  read_only
        .address_space:  global
        .offset:         16
        .size:           8
        .value_kind:     global_buffer
      - .actual_access:  read_only
        .address_space:  global
        .offset:         24
        .size:           8
        .value_kind:     global_buffer
      - .actual_access:  read_only
        .address_space:  global
        .offset:         32
        .size:           8
        .value_kind:     global_buffer
      - .offset:         40
        .size:           8
        .value_kind:     by_value
      - .address_space:  global
        .offset:         48
        .size:           8
        .value_kind:     global_buffer
      - .address_space:  global
        .offset:         56
        .size:           8
        .value_kind:     global_buffer
      - .address_space:  global
        .offset:         64
        .size:           8
        .value_kind:     global_buffer
      - .address_space:  global
        .offset:         72
        .size:           8
        .value_kind:     global_buffer
      - .offset:         80
        .size:           4
        .value_kind:     by_value
      - .address_space:  global
        .offset:         88
        .size:           8
        .value_kind:     global_buffer
      - .address_space:  global
        .offset:         96
        .size:           8
        .value_kind:     global_buffer
    .group_segment_fixed_size: 27648
    .kernarg_segment_align: 8
    .kernarg_segment_size: 104
    .language:       OpenCL C
    .language_version:
      - 2
      - 0
    .max_flat_workgroup_size: 144
    .name:           bluestein_single_fwd_len3456_dim1_sp_op_CI_CI
    .private_segment_fixed_size: 176
    .sgpr_count:     32
    .sgpr_spill_count: 0
    .symbol:         bluestein_single_fwd_len3456_dim1_sp_op_CI_CI.kd
    .uniform_work_group_size: 1
    .uses_dynamic_stack: false
    .vgpr_count:     256
    .vgpr_spill_count: 43
    .wavefront_size: 64
amdhsa.target:   amdgcn-amd-amdhsa--gfx906
amdhsa.version:
  - 1
  - 2
...

	.end_amdgpu_metadata
